;; amdgpu-corpus repo=ROCm/rocFFT kind=compiled arch=gfx1030 opt=O3
	.text
	.amdgcn_target "amdgcn-amd-amdhsa--gfx1030"
	.amdhsa_code_object_version 6
	.protected	bluestein_single_fwd_len425_dim1_half_op_CI_CI ; -- Begin function bluestein_single_fwd_len425_dim1_half_op_CI_CI
	.globl	bluestein_single_fwd_len425_dim1_half_op_CI_CI
	.p2align	8
	.type	bluestein_single_fwd_len425_dim1_half_op_CI_CI,@function
bluestein_single_fwd_len425_dim1_half_op_CI_CI: ; @bluestein_single_fwd_len425_dim1_half_op_CI_CI
; %bb.0:
	s_load_dwordx4 s[8:11], s[4:5], 0x28
	v_mul_u32_u24_e32 v1, 0xf10, v0
	s_mov_b64 s[22:23], s[2:3]
	s_mov_b64 s[20:21], s[0:1]
	s_mov_b32 s0, exec_lo
	s_add_u32 s20, s20, s7
	v_lshrrev_b32_e32 v1, 16, v1
	s_addc_u32 s21, s21, 0
	v_mad_u64_u32 v[38:39], null, s6, 3, v[1:2]
	v_mov_b32_e32 v39, 0
	s_waitcnt lgkmcnt(0)
	v_cmpx_gt_u64_e64 s[8:9], v[38:39]
	s_cbranch_execz .LBB0_15
; %bb.1:
	s_clause 0x1
	s_load_dwordx4 s[0:3], s[4:5], 0x18
	s_load_dwordx2 s[16:17], s[4:5], 0x0
	v_mul_lo_u16 v1, v1, 17
	v_sub_nc_u16 v7, v0, v1
	v_and_b32_e32 v88, 0xffff, v7
	v_lshlrev_b32_e32 v54, 2, v88
	s_waitcnt lgkmcnt(0)
	s_load_dwordx4 s[12:15], s[0:1], 0x0
	global_load_dword v91, v54, s[16:17]
	s_waitcnt lgkmcnt(0)
	v_mad_u64_u32 v[0:1], null, s14, v38, 0
	v_mad_u64_u32 v[2:3], null, s12, v88, 0
	s_mul_i32 s1, s13, 25
	s_mul_hi_u32 s6, s12, 25
	s_mul_i32 s0, s12, 25
	s_add_i32 s1, s6, s1
	s_load_dwordx2 s[6:7], s[4:5], 0x38
	v_mad_u64_u32 v[4:5], null, s15, v38, v[1:2]
	s_lshl_b64 s[14:15], s[0:1], 2
	v_add_co_u32 v36, s0, s16, v54
	v_add_co_ci_u32_e64 v37, null, s17, 0, s0
	v_mad_u64_u32 v[5:6], null, s13, v88, v[3:4]
	v_mov_b32_e32 v1, v4
	v_lshlrev_b64 v[0:1], 2, v[0:1]
	v_mov_b32_e32 v3, v5
	v_lshlrev_b64 v[4:5], 2, v[2:3]
	v_add_co_u32 v2, vcc_lo, s10, v0
	v_add_co_ci_u32_e32 v3, vcc_lo, s11, v1, vcc_lo
	v_add_co_u32 v0, vcc_lo, v2, v4
	v_add_co_ci_u32_e32 v1, vcc_lo, v3, v5, vcc_lo
	;; [unrolled: 2-line block ×3, first 2 shown]
	s_clause 0x1
	global_load_dword v6, v[0:1], off
	global_load_dword v8, v[4:5], off
	v_add_co_u32 v0, vcc_lo, v4, s14
	v_add_co_ci_u32_e32 v1, vcc_lo, s15, v5, vcc_lo
	v_add_co_u32 v4, vcc_lo, v0, s14
	v_add_co_ci_u32_e32 v5, vcc_lo, s15, v1, vcc_lo
	s_clause 0x1
	global_load_dword v90, v54, s[16:17] offset:100
	global_load_dword v89, v54, s[16:17] offset:200
	s_clause 0x1
	global_load_dword v9, v[0:1], off
	global_load_dword v10, v[4:5], off
	v_add_co_u32 v0, vcc_lo, v4, s14
	v_add_co_ci_u32_e32 v1, vcc_lo, s15, v5, vcc_lo
	s_clause 0x2
	global_load_dword v87, v54, s[16:17] offset:300
	global_load_dword v86, v54, s[16:17] offset:400
	;; [unrolled: 1-line block ×3, first 2 shown]
	v_add_co_u32 v4, vcc_lo, v0, s14
	v_add_co_ci_u32_e32 v5, vcc_lo, s15, v1, vcc_lo
	global_load_dword v11, v[0:1], off
	v_add_co_u32 v0, vcc_lo, v4, s14
	v_add_co_ci_u32_e32 v1, vcc_lo, s15, v5, vcc_lo
	global_load_dword v12, v[4:5], off
	v_add_co_u32 v4, vcc_lo, v0, s14
	v_add_co_ci_u32_e32 v5, vcc_lo, s15, v1, vcc_lo
	s_clause 0x1
	global_load_dword v84, v54, s[16:17] offset:600
	global_load_dword v83, v54, s[16:17] offset:700
	global_load_dword v13, v[0:1], off
	global_load_dword v14, v[4:5], off
	v_add_co_u32 v0, vcc_lo, v4, s14
	v_add_co_ci_u32_e32 v1, vcc_lo, s15, v5, vcc_lo
	s_clause 0x1
	global_load_dword v82, v54, s[16:17] offset:800
	global_load_dword v81, v54, s[16:17] offset:900
	v_add_co_u32 v4, vcc_lo, v0, s14
	v_add_co_ci_u32_e32 v5, vcc_lo, s15, v1, vcc_lo
	global_load_dword v15, v[0:1], off
	v_add_co_u32 v0, vcc_lo, v4, s14
	v_add_co_ci_u32_e32 v1, vcc_lo, s15, v5, vcc_lo
	global_load_dword v16, v[4:5], off
	v_add_co_u32 v4, vcc_lo, v0, s14
	v_add_co_ci_u32_e32 v5, vcc_lo, s15, v1, vcc_lo
	global_load_dword v80, v54, s[16:17] offset:1000
	global_load_dword v17, v[0:1], off
	global_load_dword v18, v[4:5], off
	v_add_co_u32 v0, vcc_lo, v4, s14
	v_add_co_ci_u32_e32 v1, vcc_lo, s15, v5, vcc_lo
	s_clause 0x2
	global_load_dword v79, v54, s[16:17] offset:1100
	global_load_dword v78, v54, s[16:17] offset:1200
	;; [unrolled: 1-line block ×3, first 2 shown]
	v_add_co_u32 v4, vcc_lo, v0, s14
	v_add_co_ci_u32_e32 v5, vcc_lo, s15, v1, vcc_lo
	global_load_dword v19, v[0:1], off
	v_add_co_u32 v0, vcc_lo, v4, s14
	v_add_co_ci_u32_e32 v1, vcc_lo, s15, v5, vcc_lo
	global_load_dword v20, v[4:5], off
	;; [unrolled: 3-line block ×3, first 2 shown]
	v_add_co_u32 v0, vcc_lo, v4, s14
	v_add_co_ci_u32_e32 v1, vcc_lo, s15, v5, vcc_lo
	global_load_dword v76, v54, s[16:17] offset:1400
	global_load_dword v22, v[4:5], off
	global_load_dword v23, v[0:1], off
	s_clause 0x1
	global_load_dword v75, v54, s[16:17] offset:1500
	global_load_dword v74, v54, s[16:17] offset:1600
	v_mul_hi_u32 v4, 0xaaaaaaab, v38
	v_cmp_gt_u16_e32 vcc_lo, 8, v7
	s_load_dwordx4 s[8:11], s[2:3], 0x0
	v_lshrrev_b32_e32 v4, 1, v4
	v_lshl_add_u32 v4, v4, 1, v4
	v_sub_nc_u32_e32 v4, v38, v4
	v_mul_u32_u24_e32 v4, 0x1a9, v4
	v_lshlrev_b32_e32 v51, 2, v4
	v_add_nc_u32_e32 v72, v54, v51
	v_add_nc_u32_e32 v4, 0x200, v72
	;; [unrolled: 1-line block ×3, first 2 shown]
	s_waitcnt vmcnt(32)
	v_lshrrev_b32_e32 v7, 16, v6
	v_mul_f16_sdwa v24, v91, v6 dst_sel:DWORD dst_unused:UNUSED_PAD src0_sel:WORD_1 src1_sel:DWORD
	s_waitcnt vmcnt(31)
	v_lshrrev_b32_e32 v26, 16, v8
	v_mul_f16_sdwa v25, v91, v7 dst_sel:DWORD dst_unused:UNUSED_PAD src0_sel:WORD_1 src1_sel:DWORD
	v_fma_f16 v7, v91, v7, -v24
	s_waitcnt vmcnt(30)
	v_mul_f16_sdwa v27, v90, v8 dst_sel:DWORD dst_unused:UNUSED_PAD src0_sel:WORD_1 src1_sel:DWORD
	v_fmac_f16_e32 v25, v91, v6
	v_mul_f16_sdwa v6, v90, v26 dst_sel:DWORD dst_unused:UNUSED_PAD src0_sel:WORD_1 src1_sel:DWORD
	s_waitcnt vmcnt(28)
	v_lshrrev_b32_e32 v24, 16, v9
	v_fma_f16 v26, v90, v26, -v27
	v_mul_f16_sdwa v27, v89, v9 dst_sel:DWORD dst_unused:UNUSED_PAD src0_sel:WORD_1 src1_sel:DWORD
	v_pack_b32_f16 v7, v25, v7
	v_fmac_f16_e32 v6, v90, v8
	v_mul_f16_sdwa v8, v89, v24 dst_sel:DWORD dst_unused:UNUSED_PAD src0_sel:WORD_1 src1_sel:DWORD
	s_waitcnt vmcnt(27)
	v_lshrrev_b32_e32 v25, 16, v10
	s_waitcnt vmcnt(26)
	v_mul_f16_sdwa v28, v87, v10 dst_sel:DWORD dst_unused:UNUSED_PAD src0_sel:WORD_1 src1_sel:DWORD
	v_fma_f16 v24, v89, v24, -v27
	v_pack_b32_f16 v6, v6, v26
	v_fmac_f16_e32 v8, v89, v9
	v_mul_f16_sdwa v9, v87, v25 dst_sel:DWORD dst_unused:UNUSED_PAD src0_sel:WORD_1 src1_sel:DWORD
	s_waitcnt vmcnt(23)
	v_lshrrev_b32_e32 v26, 16, v11
	v_fma_f16 v25, v87, v25, -v28
	v_mul_f16_sdwa v27, v86, v11 dst_sel:DWORD dst_unused:UNUSED_PAD src0_sel:WORD_1 src1_sel:DWORD
	ds_write2_b32 v72, v7, v6 offset1:25
	v_pack_b32_f16 v6, v8, v24
	v_fmac_f16_e32 v9, v87, v10
	v_mul_f16_sdwa v7, v86, v26 dst_sel:DWORD dst_unused:UNUSED_PAD src0_sel:WORD_1 src1_sel:DWORD
	s_waitcnt vmcnt(22)
	v_lshrrev_b32_e32 v8, 16, v12
	v_mul_f16_sdwa v10, v85, v12 dst_sel:DWORD dst_unused:UNUSED_PAD src0_sel:WORD_1 src1_sel:DWORD
	v_fma_f16 v24, v86, v26, -v27
	v_pack_b32_f16 v9, v9, v25
	v_fmac_f16_e32 v7, v86, v11
	v_mul_f16_sdwa v11, v85, v8 dst_sel:DWORD dst_unused:UNUSED_PAD src0_sel:WORD_1 src1_sel:DWORD
	v_fma_f16 v8, v85, v8, -v10
	s_waitcnt vmcnt(19)
	v_lshrrev_b32_e32 v10, 16, v13
	v_mul_f16_sdwa v25, v84, v13 dst_sel:DWORD dst_unused:UNUSED_PAD src0_sel:WORD_1 src1_sel:DWORD
	ds_write2_b32 v72, v6, v9 offset0:50 offset1:75
	v_pack_b32_f16 v6, v7, v24
	v_fmac_f16_e32 v11, v85, v12
	v_mul_f16_sdwa v7, v84, v10 dst_sel:DWORD dst_unused:UNUSED_PAD src0_sel:WORD_1 src1_sel:DWORD
	s_waitcnt vmcnt(18)
	v_lshrrev_b32_e32 v9, 16, v14
	v_mul_f16_sdwa v12, v83, v14 dst_sel:DWORD dst_unused:UNUSED_PAD src0_sel:WORD_1 src1_sel:DWORD
	v_fma_f16 v10, v84, v10, -v25
	v_pack_b32_f16 v8, v11, v8
	v_fmac_f16_e32 v7, v84, v13
	v_mul_f16_sdwa v11, v83, v9 dst_sel:DWORD dst_unused:UNUSED_PAD src0_sel:WORD_1 src1_sel:DWORD
	v_fma_f16 v9, v83, v9, -v12
	s_waitcnt vmcnt(15)
	v_lshrrev_b32_e32 v12, 16, v15
	v_mul_f16_sdwa v13, v82, v15 dst_sel:DWORD dst_unused:UNUSED_PAD src0_sel:WORD_1 src1_sel:DWORD
	ds_write2_b32 v72, v6, v8 offset0:100 offset1:125
	;; [unrolled: 15-line block ×3, first 2 shown]
	v_pack_b32_f16 v6, v7, v12
	v_fmac_f16_e32 v11, v81, v16
	v_mul_f16_sdwa v7, v80, v10 dst_sel:DWORD dst_unused:UNUSED_PAD src0_sel:WORD_1 src1_sel:DWORD
	s_waitcnt vmcnt(11)
	v_lshrrev_b32_e32 v9, 16, v18
	s_waitcnt vmcnt(10)
	v_mul_f16_sdwa v12, v79, v18 dst_sel:DWORD dst_unused:UNUSED_PAD src0_sel:WORD_1 src1_sel:DWORD
	v_fma_f16 v10, v80, v10, -v13
	v_pack_b32_f16 v8, v11, v8
	v_fmac_f16_e32 v7, v80, v17
	v_mul_f16_sdwa v11, v79, v9 dst_sel:DWORD dst_unused:UNUSED_PAD src0_sel:WORD_1 src1_sel:DWORD
	v_fma_f16 v9, v79, v9, -v12
	s_waitcnt vmcnt(7)
	v_lshrrev_b32_e32 v12, 16, v19
	v_mul_f16_sdwa v13, v78, v19 dst_sel:DWORD dst_unused:UNUSED_PAD src0_sel:WORD_1 src1_sel:DWORD
	ds_write2_b32 v72, v6, v8 offset0:200 offset1:225
	v_pack_b32_f16 v6, v7, v10
	v_fmac_f16_e32 v11, v79, v18
	s_waitcnt vmcnt(6)
	v_lshrrev_b32_e32 v7, 16, v20
	v_mul_f16_sdwa v8, v78, v12 dst_sel:DWORD dst_unused:UNUSED_PAD src0_sel:WORD_1 src1_sel:DWORD
	v_fma_f16 v10, v78, v12, -v13
	v_mul_f16_sdwa v12, v77, v20 dst_sel:DWORD dst_unused:UNUSED_PAD src0_sel:WORD_1 src1_sel:DWORD
	v_pack_b32_f16 v9, v11, v9
	v_mul_f16_sdwa v11, v77, v7 dst_sel:DWORD dst_unused:UNUSED_PAD src0_sel:WORD_1 src1_sel:DWORD
	s_waitcnt vmcnt(5)
	v_lshrrev_b32_e32 v13, 16, v21
	s_waitcnt vmcnt(3)
	v_lshrrev_b32_e32 v14, 16, v22
	v_fma_f16 v7, v77, v7, -v12
	v_mul_f16_sdwa v12, v76, v21 dst_sel:DWORD dst_unused:UNUSED_PAD src0_sel:WORD_1 src1_sel:DWORD
	s_waitcnt vmcnt(2)
	v_lshrrev_b32_e32 v16, 16, v23
	v_mul_f16_sdwa v15, v76, v13 dst_sel:DWORD dst_unused:UNUSED_PAD src0_sel:WORD_1 src1_sel:DWORD
	s_waitcnt vmcnt(1)
	v_mul_f16_sdwa v17, v75, v14 dst_sel:DWORD dst_unused:UNUSED_PAD src0_sel:WORD_1 src1_sel:DWORD
	v_fmac_f16_e32 v11, v77, v20
	v_fma_f16 v12, v76, v13, -v12
	v_mul_f16_sdwa v13, v75, v22 dst_sel:DWORD dst_unused:UNUSED_PAD src0_sel:WORD_1 src1_sel:DWORD
	v_fmac_f16_e32 v8, v78, v19
	v_fmac_f16_e32 v17, v75, v22
	s_waitcnt vmcnt(0)
	v_mul_f16_sdwa v18, v74, v23 dst_sel:DWORD dst_unused:UNUSED_PAD src0_sel:WORD_1 src1_sel:DWORD
	v_mul_f16_sdwa v19, v74, v16 dst_sel:DWORD dst_unused:UNUSED_PAD src0_sel:WORD_1 src1_sel:DWORD
	v_fma_f16 v13, v75, v14, -v13
	v_pack_b32_f16 v7, v11, v7
	v_fmac_f16_e32 v15, v76, v21
	v_fma_f16 v14, v74, v16, -v18
	v_fmac_f16_e32 v19, v74, v23
	v_pack_b32_f16 v11, v17, v13
	v_or_b32_e32 v13, 0xc0, v88
	v_pack_b32_f16 v8, v8, v10
	v_pack_b32_f16 v10, v15, v12
	v_pack_b32_f16 v12, v19, v14
	buffer_store_dword v13, off, s[20:23], 0 offset:4 ; 4-byte Folded Spill
	v_or_b32_e32 v13, 0x188, v88
	buffer_store_dword v13, off, s[20:23], 0 ; 4-byte Folded Spill
	ds_write2_b32 v4, v6, v9 offset0:122 offset1:147
	ds_write2_b32 v5, v8, v7 offset0:44 offset1:69
	;; [unrolled: 1-line block ×3, first 2 shown]
	ds_write_b32 v72, v12 offset:1600
	s_and_saveexec_b32 s1, vcc_lo
	s_cbranch_execz .LBB0_3
; %bb.2:
	v_mad_u64_u32 v[0:1], null, 0xfffffa04, s12, v[0:1]
	s_mul_i32 s0, s13, 0xfffffa04
	v_or_b32_e32 v16, 0xc0, v88
	s_sub_i32 s0, s0, s12
	v_or_b32_e32 v20, 0x188, v88
	s_mul_i32 s2, s13, 0xc8
	v_mad_u64_u32 v[6:7], null, s12, v16, 0
	v_add_nc_u32_e32 v1, s0, v1
	v_add_co_u32 v10, s0, v0, s14
	v_mad_u64_u32 v[8:9], null, s12, v20, 0
	v_add_co_ci_u32_e64 v11, s0, s15, v1, s0
	v_add_co_u32 v12, s0, v10, s14
	v_add_co_ci_u32_e64 v13, s0, s15, v11, s0
	v_add_co_u32 v14, s0, v12, s14
	v_mad_u64_u32 v[16:17], null, s13, v16, v[7:8]
	v_add_co_ci_u32_e64 v15, s0, s15, v13, s0
	v_add_co_u32 v17, s0, v14, s14
	v_add_co_ci_u32_e64 v18, s0, s15, v15, s0
	global_load_dword v19, v[0:1], off
	global_load_dword v10, v[10:11], off
	;; [unrolled: 1-line block ×5, first 2 shown]
	v_mov_b32_e32 v7, v16
	v_lshlrev_b64 v[6:7], 2, v[6:7]
	s_waitcnt vmcnt(4)
	v_lshrrev_b32_e32 v39, 16, v19
	s_waitcnt vmcnt(3)
	v_mad_u64_u32 v[0:1], null, s13, v20, v[9:10]
	s_clause 0x4
	global_load_dword v14, v[36:37], off offset:68
	global_load_dword v15, v[36:37], off offset:168
	;; [unrolled: 1-line block ×5, first 2 shown]
	v_lshrrev_b32_e32 v42, 16, v10
	v_mov_b32_e32 v9, v0
	v_add_co_u32 v0, s0, v17, s14
	v_add_co_ci_u32_e64 v1, s0, s15, v18, s0
	v_lshlrev_b64 v[8:9], 2, v[8:9]
	v_add_co_u32 v6, s0, v2, v6
	v_add_co_ci_u32_e64 v7, s0, v3, v7, s0
	v_add_co_u32 v2, s0, v2, v8
	v_add_co_ci_u32_e64 v3, s0, v3, v9, s0
	v_add_co_u32 v8, s0, v0, s14
	v_add_co_ci_u32_e64 v9, s0, s15, v1, s0
	global_load_dword v17, v[6:7], off
	global_load_dword v18, v[36:37], off offset:768
	global_load_dword v22, v[2:3], off
	global_load_dword v23, v[36:37], off offset:1568
	;; [unrolled: 2-line block ×3, first 2 shown]
	v_mad_u64_u32 v[2:3], null, 0xc8, s12, v[8:9]
	v_add_nc_u32_e32 v3, s2, v3
	v_add_co_u32 v0, s0, v2, s14
	global_load_dword v26, v[36:37], off offset:668
	global_load_dword v27, v[8:9], off
	global_load_dword v28, v[2:3], off
	global_load_dword v29, v[36:37], off offset:868
	v_add_co_ci_u32_e64 v1, s0, s15, v3, s0
	v_add_co_u32 v2, s0, v0, s14
	v_add_co_ci_u32_e64 v3, s0, s15, v1, s0
	global_load_dword v30, v[0:1], off
	v_add_co_u32 v0, s0, v2, s14
	v_add_co_ci_u32_e64 v1, s0, s15, v3, s0
	global_load_dword v31, v[2:3], off
	v_add_co_u32 v2, s0, v0, s14
	v_add_co_ci_u32_e64 v3, s0, s15, v1, s0
	s_clause 0x1
	global_load_dword v32, v[36:37], off offset:968
	global_load_dword v33, v[36:37], off offset:1068
	v_add_co_u32 v6, s0, v2, s14
	v_add_co_ci_u32_e64 v7, s0, s15, v3, s0
	global_load_dword v34, v[0:1], off
	v_add_co_u32 v0, s0, v6, s14
	v_add_co_ci_u32_e64 v1, s0, s15, v7, s0
	global_load_dword v35, v[36:37], off offset:1168
	global_load_dword v2, v[2:3], off
	global_load_dword v3, v[36:37], off offset:1268
	global_load_dword v6, v[6:7], off
	v_mad_u64_u32 v[8:9], null, 0xc8, s12, v[0:1]
	v_add_nc_u32_e32 v9, s2, v9
	global_load_dword v7, v[36:37], off offset:1368
	global_load_dword v0, v[0:1], off
	global_load_dword v1, v[8:9], off
	s_clause 0x1
	global_load_dword v8, v[36:37], off offset:1468
	global_load_dword v9, v[36:37], off offset:1668
	s_waitcnt vmcnt(28)
	v_mul_f16_sdwa v40, v14, v19 dst_sel:DWORD dst_unused:UNUSED_PAD src0_sel:WORD_1 src1_sel:DWORD
	v_mul_f16_sdwa v41, v14, v39 dst_sel:DWORD dst_unused:UNUSED_PAD src0_sel:WORD_1 src1_sel:DWORD
	s_waitcnt vmcnt(27)
	v_mul_f16_sdwa v43, v15, v10 dst_sel:DWORD dst_unused:UNUSED_PAD src0_sel:WORD_1 src1_sel:DWORD
	v_fma_f16 v39, v14, v39, -v40
	v_fmac_f16_e32 v41, v14, v19
	v_mul_f16_sdwa v14, v15, v42 dst_sel:DWORD dst_unused:UNUSED_PAD src0_sel:WORD_1 src1_sel:DWORD
	v_lshrrev_b32_e32 v19, 16, v11
	v_fma_f16 v40, v15, v42, -v43
	s_waitcnt vmcnt(26)
	v_mul_f16_sdwa v42, v16, v11 dst_sel:DWORD dst_unused:UNUSED_PAD src0_sel:WORD_1 src1_sel:DWORD
	v_pack_b32_f16 v39, v41, v39
	v_fmac_f16_e32 v14, v15, v10
	v_mul_f16_sdwa v10, v16, v19 dst_sel:DWORD dst_unused:UNUSED_PAD src0_sel:WORD_1 src1_sel:DWORD
	v_lshrrev_b32_e32 v15, 16, v12
	s_waitcnt vmcnt(25)
	v_mul_f16_sdwa v41, v20, v12 dst_sel:DWORD dst_unused:UNUSED_PAD src0_sel:WORD_1 src1_sel:DWORD
	v_fma_f16 v19, v16, v19, -v42
	v_pack_b32_f16 v14, v14, v40
	v_fmac_f16_e32 v10, v16, v11
	v_mul_f16_sdwa v11, v20, v15 dst_sel:DWORD dst_unused:UNUSED_PAD src0_sel:WORD_1 src1_sel:DWORD
	v_lshrrev_b32_e32 v16, 16, v13
	s_waitcnt vmcnt(24)
	v_mul_f16_sdwa v40, v21, v13 dst_sel:DWORD dst_unused:UNUSED_PAD src0_sel:WORD_1 src1_sel:DWORD
	v_fma_f16 v15, v20, v15, -v41
	ds_write2_b32 v72, v39, v14 offset0:17 offset1:42
	v_pack_b32_f16 v10, v10, v19
	v_fmac_f16_e32 v11, v20, v12
	s_waitcnt vmcnt(23)
	v_lshrrev_b32_e32 v41, 16, v17
	v_mul_f16_sdwa v12, v21, v16 dst_sel:DWORD dst_unused:UNUSED_PAD src0_sel:WORD_1 src1_sel:DWORD
	v_fma_f16 v14, v21, v16, -v40
	s_waitcnt vmcnt(19)
	v_lshrrev_b32_e32 v16, 16, v24
	s_waitcnt vmcnt(18)
	v_mul_f16_sdwa v19, v25, v24 dst_sel:DWORD dst_unused:UNUSED_PAD src0_sel:WORD_1 src1_sel:DWORD
	v_mul_f16_sdwa v20, v18, v41 dst_sel:DWORD dst_unused:UNUSED_PAD src0_sel:WORD_1 src1_sel:DWORD
	v_pack_b32_f16 v11, v11, v15
	v_fmac_f16_e32 v12, v21, v13
	v_mul_f16_sdwa v13, v25, v16 dst_sel:DWORD dst_unused:UNUSED_PAD src0_sel:WORD_1 src1_sel:DWORD
	v_fma_f16 v15, v25, v16, -v19
	v_mul_f16_sdwa v42, v18, v17 dst_sel:DWORD dst_unused:UNUSED_PAD src0_sel:WORD_1 src1_sel:DWORD
	v_fmac_f16_e32 v20, v18, v17
	ds_write2_b32 v72, v10, v11 offset0:67 offset1:92
	v_fmac_f16_e32 v13, v25, v24
	v_pack_b32_f16 v10, v12, v14
	v_fma_f16 v39, v18, v41, -v42
	s_waitcnt vmcnt(16)
	v_lshrrev_b32_e32 v16, 16, v27
	v_mul_f16_sdwa v19, v26, v27 dst_sel:DWORD dst_unused:UNUSED_PAD src0_sel:WORD_1 src1_sel:DWORD
	v_pack_b32_f16 v12, v13, v15
	s_waitcnt vmcnt(15)
	v_lshrrev_b32_e32 v13, 16, v28
	v_pack_b32_f16 v14, v20, v39
	v_mul_f16_sdwa v17, v26, v16 dst_sel:DWORD dst_unused:UNUSED_PAD src0_sel:WORD_1 src1_sel:DWORD
	v_fma_f16 v11, v26, v16, -v19
	s_waitcnt vmcnt(14)
	v_mul_f16_sdwa v15, v29, v28 dst_sel:DWORD dst_unused:UNUSED_PAD src0_sel:WORD_1 src1_sel:DWORD
	ds_write2_b32 v72, v10, v12 offset0:117 offset1:142
	v_lshrrev_b32_e32 v43, 16, v22
	v_fmac_f16_e32 v17, v26, v27
	s_waitcnt vmcnt(13)
	v_lshrrev_b32_e32 v12, 16, v30
	v_mul_f16_sdwa v44, v23, v22 dst_sel:DWORD dst_unused:UNUSED_PAD src0_sel:WORD_1 src1_sel:DWORD
	v_mul_f16_sdwa v40, v23, v43 dst_sel:DWORD dst_unused:UNUSED_PAD src0_sel:WORD_1 src1_sel:DWORD
	v_pack_b32_f16 v10, v17, v11
	v_mul_f16_sdwa v11, v29, v13 dst_sel:DWORD dst_unused:UNUSED_PAD src0_sel:WORD_1 src1_sel:DWORD
	v_fma_f16 v13, v29, v13, -v15
	v_fma_f16 v41, v23, v43, -v44
	s_waitcnt vmcnt(11)
	v_mul_f16_sdwa v15, v32, v30 dst_sel:DWORD dst_unused:UNUSED_PAD src0_sel:WORD_1 src1_sel:DWORD
	ds_write2_b32 v72, v10, v14 offset0:167 offset1:192
	v_fmac_f16_e32 v11, v29, v28
	v_lshrrev_b32_e32 v14, 16, v31
	v_mul_f16_sdwa v10, v32, v12 dst_sel:DWORD dst_unused:UNUSED_PAD src0_sel:WORD_1 src1_sel:DWORD
	v_fma_f16 v12, v32, v12, -v15
	s_waitcnt vmcnt(10)
	v_mul_f16_sdwa v15, v33, v31 dst_sel:DWORD dst_unused:UNUSED_PAD src0_sel:WORD_1 src1_sel:DWORD
	v_pack_b32_f16 v11, v11, v13
	v_mul_f16_sdwa v13, v33, v14 dst_sel:DWORD dst_unused:UNUSED_PAD src0_sel:WORD_1 src1_sel:DWORD
	v_fmac_f16_e32 v10, v32, v30
	s_waitcnt vmcnt(9)
	v_lshrrev_b32_e32 v16, 16, v34
	v_fma_f16 v14, v33, v14, -v15
	s_waitcnt vmcnt(7)
	v_lshrrev_b32_e32 v17, 16, v2
	v_fmac_f16_e32 v13, v33, v31
	v_mul_f16_sdwa v15, v35, v34 dst_sel:DWORD dst_unused:UNUSED_PAD src0_sel:WORD_1 src1_sel:DWORD
	v_pack_b32_f16 v10, v10, v12
	v_mul_f16_sdwa v12, v35, v16 dst_sel:DWORD dst_unused:UNUSED_PAD src0_sel:WORD_1 src1_sel:DWORD
	s_waitcnt vmcnt(6)
	v_mul_f16_sdwa v18, v3, v2 dst_sel:DWORD dst_unused:UNUSED_PAD src0_sel:WORD_1 src1_sel:DWORD
	v_pack_b32_f16 v13, v13, v14
	v_mul_f16_sdwa v14, v3, v17 dst_sel:DWORD dst_unused:UNUSED_PAD src0_sel:WORD_1 src1_sel:DWORD
	v_fma_f16 v15, v35, v16, -v15
	v_fmac_f16_e32 v12, v35, v34
	v_fma_f16 v16, v3, v17, -v18
	s_waitcnt vmcnt(5)
	v_lshrrev_b32_e32 v17, 16, v6
	s_waitcnt vmcnt(4)
	v_mul_f16_sdwa v18, v7, v6 dst_sel:DWORD dst_unused:UNUSED_PAD src0_sel:WORD_1 src1_sel:DWORD
	v_fmac_f16_e32 v14, v3, v2
	s_waitcnt vmcnt(3)
	v_lshrrev_b32_e32 v2, 16, v0
	s_waitcnt vmcnt(2)
	v_lshrrev_b32_e32 v3, 16, v1
	v_pack_b32_f16 v12, v12, v15
	v_mul_f16_sdwa v15, v7, v17 dst_sel:DWORD dst_unused:UNUSED_PAD src0_sel:WORD_1 src1_sel:DWORD
	v_fma_f16 v17, v7, v17, -v18
	s_waitcnt vmcnt(1)
	v_mul_f16_sdwa v18, v8, v0 dst_sel:DWORD dst_unused:UNUSED_PAD src0_sel:WORD_1 src1_sel:DWORD
	v_mul_f16_sdwa v19, v8, v2 dst_sel:DWORD dst_unused:UNUSED_PAD src0_sel:WORD_1 src1_sel:DWORD
	s_waitcnt vmcnt(0)
	v_mul_f16_sdwa v20, v9, v3 dst_sel:DWORD dst_unused:UNUSED_PAD src0_sel:WORD_1 src1_sel:DWORD
	v_mul_f16_sdwa v21, v9, v1 dst_sel:DWORD dst_unused:UNUSED_PAD src0_sel:WORD_1 src1_sel:DWORD
	v_fmac_f16_e32 v15, v7, v6
	v_fmac_f16_e32 v40, v23, v22
	v_fma_f16 v2, v8, v2, -v18
	v_fmac_f16_e32 v19, v8, v0
	v_fmac_f16_e32 v20, v9, v1
	v_fma_f16 v0, v9, v3, -v21
	v_pack_b32_f16 v1, v14, v16
	v_pack_b32_f16 v3, v15, v17
	v_pack_b32_f16 v2, v19, v2
	v_pack_b32_f16 v6, v40, v41
	v_pack_b32_f16 v0, v20, v0
	ds_write2_b32 v72, v11, v10 offset0:217 offset1:242
	ds_write2_b32 v5, v13, v12 offset0:11 offset1:36
	;; [unrolled: 1-line block ×4, first 2 shown]
	ds_write_b32 v72, v0 offset:1668
.LBB0_3:
	s_or_b32 exec_lo, exec_lo, s1
	s_waitcnt lgkmcnt(0)
	s_waitcnt_vscnt null, 0x0
	s_barrier
	buffer_gl0_inv
	ds_read2_b32 v[16:17], v72 offset1:25
	ds_read2_b32 v[20:21], v72 offset0:50 offset1:75
	ds_read2_b32 v[24:25], v72 offset0:100 offset1:125
	;; [unrolled: 1-line block ×7, first 2 shown]
	ds_read_b32 v101, v72 offset:1600
	s_load_dwordx2 s[0:1], s[4:5], 0x8
	v_mov_b32_e32 v0, 0
                                        ; implicit-def: $vgpr9
                                        ; implicit-def: $vgpr6
                                        ; implicit-def: $vgpr11
                                        ; implicit-def: $vgpr4
                                        ; implicit-def: $vgpr13
                                        ; implicit-def: $vgpr2
                                        ; implicit-def: $vgpr15
                                        ; implicit-def: $vgpr32
	s_and_saveexec_b32 s2, vcc_lo
	s_cbranch_execz .LBB0_5
; %bb.4:
	v_add_nc_u32_e32 v2, 0x400, v72
	ds_read2_b32 v[0:1], v72 offset0:17 offset1:42
	ds_read2_b32 v[14:15], v72 offset0:67 offset1:92
	ds_read2_b32 v[12:13], v72 offset0:117 offset1:142
	ds_read2_b32 v[10:11], v72 offset0:167 offset1:192
	ds_read2_b32 v[8:9], v72 offset0:217 offset1:242
	ds_read2_b32 v[6:7], v2 offset0:11 offset1:36
	ds_read2_b32 v[4:5], v2 offset0:61 offset1:86
	ds_read2_b32 v[2:3], v2 offset0:111 offset1:136
	ds_read_b32 v32, v72 offset:1668
.LBB0_5:
	s_or_b32 exec_lo, exec_lo, s2
	s_waitcnt lgkmcnt(0)
	v_pk_add_f16 v96, v1, v32 neg_lo:[0,1] neg_hi:[0,1]
	v_mov_b32_e32 v99, 0xb964
	v_pk_add_f16 v33, v32, v1
	v_mov_b32_e32 v97, 0xbb29
	v_mov_b32_e32 v95, 0xbbf7
	v_pk_add_f16 v98, v14, v3 neg_lo:[0,1] neg_hi:[0,1]
	v_mul_f16_sdwa v39, v96, v99 dst_sel:DWORD dst_unused:UNUSED_PAD src0_sel:WORD_1 src1_sel:DWORD
	v_mov_b32_e32 v94, 0xba62
	v_mul_f16_sdwa v40, v96, v97 dst_sel:DWORD dst_unused:UNUSED_PAD src0_sel:WORD_1 src1_sel:DWORD
	v_pk_add_f16 v34, v3, v14
	v_mul_f16_sdwa v35, v98, v95 dst_sel:DWORD dst_unused:UNUSED_PAD src0_sel:WORD_1 src1_sel:DWORD
	buffer_store_dword v39, off, s[20:23], 0 offset:12 ; 4-byte Folded Spill
	v_fmamk_f16 v39, v33, 0x39e9, v39
	v_pk_add_f16 v102, v15, v2 neg_lo:[0,1] neg_hi:[0,1]
	v_mul_f16_sdwa v42, v98, v94 dst_sel:DWORD dst_unused:UNUSED_PAD src0_sel:WORD_1 src1_sel:DWORD
	buffer_store_dword v40, off, s[20:23], 0 offset:16 ; 4-byte Folded Spill
	v_fmamk_f16 v40, v33, 0x3722, v40
	buffer_store_dword v35, off, s[20:23], 0 offset:8 ; 4-byte Folded Spill
	v_fmamk_f16 v41, v34, 0x2de8, v35
	v_add_f16_e32 v39, v39, v0
	v_mov_b32_e32 v144, 0x31e1
	v_pk_add_f16 v48, v2, v15
	v_mul_f16_sdwa v35, v102, v94 dst_sel:DWORD dst_unused:UNUSED_PAD src0_sel:WORD_1 src1_sel:DWORD
	v_mov_b32_e32 v100, 0xb1e1
	v_pk_add_f16 v104, v12, v5 neg_lo:[0,1] neg_hi:[0,1]
	buffer_store_dword v42, off, s[20:23], 0 offset:20 ; 4-byte Folded Spill
	v_fmamk_f16 v42, v34, 0xb8d2, v42
	v_add_f16_e32 v40, v40, v0
	v_add_f16_e32 v39, v41, v39
	v_mul_f16_sdwa v56, v102, v144 dst_sel:DWORD dst_unused:UNUSED_PAD src0_sel:WORD_1 src1_sel:DWORD
	v_fmamk_f16 v41, v48, 0xb8d2, v35
	v_pk_add_f16 v49, v5, v12
	v_mov_b32_e32 v141, 0x3bb2
	v_mul_f16_sdwa v53, v104, v100 dst_sel:DWORD dst_unused:UNUSED_PAD src0_sel:WORD_1 src1_sel:DWORD
	v_mov_b32_e32 v143, 0x3836
	v_pk_add_f16 v133, v13, v4 neg_lo:[0,1] neg_hi:[0,1]
	v_add_f16_e32 v40, v42, v40
	v_fmamk_f16 v42, v48, 0xbbdd, v56
	v_add_f16_e32 v39, v41, v39
	v_mul_f16_sdwa v60, v104, v141 dst_sel:DWORD dst_unused:UNUSED_PAD src0_sel:WORD_1 src1_sel:DWORD
	v_fmamk_f16 v41, v49, 0xbbdd, v53
	v_mov_b32_e32 v139, 0x3964
	v_pk_add_f16 v52, v4, v13
	v_mul_f16_sdwa v58, v133, v143 dst_sel:DWORD dst_unused:UNUSED_PAD src0_sel:WORD_1 src1_sel:DWORD
	v_pk_add_f16 v134, v10, v7 neg_lo:[0,1] neg_hi:[0,1]
	v_add_f16_e32 v40, v42, v40
	v_fmamk_f16 v42, v49, 0xb461, v60
	v_add_f16_e32 v39, v41, v39
	v_mul_f16_sdwa v63, v133, v139 dst_sel:DWORD dst_unused:UNUSED_PAD src0_sel:WORD_1 src1_sel:DWORD
	v_mov_b32_e32 v138, 0xb5c8
	v_fmamk_f16 v41, v52, 0xbacd, v58
	v_pk_add_f16 v57, v7, v10
	v_mul_f16_sdwa v62, v134, v141 dst_sel:DWORD dst_unused:UNUSED_PAD src0_sel:WORD_1 src1_sel:DWORD
	v_mov_b32_e32 v140, 0x3b29
	v_pk_add_f16 v135, v11, v6 neg_lo:[0,1] neg_hi:[0,1]
	buffer_store_dword v35, off, s[20:23], 0 offset:24 ; 4-byte Folded Spill
	v_add_f16_e32 v40, v42, v40
	v_fmamk_f16 v42, v52, 0x39e9, v63
	v_mul_f16_sdwa v64, v134, v138 dst_sel:DWORD dst_unused:UNUSED_PAD src0_sel:WORD_1 src1_sel:DWORD
	v_add_f16_e32 v39, v41, v39
	v_fmamk_f16 v41, v57, 0xb461, v62
	v_pk_add_f16 v59, v6, v11
	v_mul_f16_sdwa v35, v135, v140 dst_sel:DWORD dst_unused:UNUSED_PAD src0_sel:WORD_1 src1_sel:DWORD
	v_add_f16_e32 v40, v42, v40
	v_fmamk_f16 v42, v57, 0x3b76, v64
	v_add_f16_e32 v39, v41, v39
	v_mul_f16_sdwa v65, v135, v95 dst_sel:DWORD dst_unused:UNUSED_PAD src0_sel:WORD_1 src1_sel:DWORD
	v_fmamk_f16 v41, v59, 0x3722, v35
	v_mov_b32_e32 v160, 0x35c8
	v_pk_add_f16 v103, v8, v9 neg_lo:[0,1] neg_hi:[0,1]
	v_add_f16_e32 v40, v42, v40
	v_pk_add_f16 v61, v9, v8
	v_add_f16_e32 v39, v41, v39
	v_fmamk_f16 v41, v59, 0x2de8, v65
	v_mul_f16_sdwa v55, v103, v160 dst_sel:DWORD dst_unused:UNUSED_PAD src0_sel:WORD_1 src1_sel:DWORD
	v_mov_b32_e32 v136, 0xb836
	v_mul_f16_sdwa v107, v96, v95 dst_sel:DWORD dst_unused:UNUSED_PAD src0_sel:WORD_1 src1_sel:DWORD
	v_mul_f16_sdwa v105, v98, v100 dst_sel:DWORD dst_unused:UNUSED_PAD src0_sel:WORD_1 src1_sel:DWORD
	v_add_f16_e32 v41, v41, v40
	v_fmamk_f16 v40, v61, 0x3b76, v55
	v_mul_f16_sdwa v66, v103, v136 dst_sel:DWORD dst_unused:UNUSED_PAD src0_sel:WORD_1 src1_sel:DWORD
	v_mov_b32_e32 v137, 0xbbb2
	v_fmamk_f16 v42, v34, 0xbbdd, v105
	v_mul_f16_sdwa v115, v98, v143 dst_sel:DWORD dst_unused:UNUSED_PAD src0_sel:WORD_1 src1_sel:DWORD
	v_add_f16_e32 v40, v40, v39
	v_fmamk_f16 v39, v61, 0xbacd, v66
	v_mul_f16_sdwa v116, v96, v137 dst_sel:DWORD dst_unused:UNUSED_PAD src0_sel:WORD_1 src1_sel:DWORD
	v_mul_f16_sdwa v106, v102, v141 dst_sel:DWORD dst_unused:UNUSED_PAD src0_sel:WORD_1 src1_sel:DWORD
	v_fmamk_f16 v43, v34, 0xbacd, v115
	v_mul_f16_sdwa v114, v102, v139 dst_sel:DWORD dst_unused:UNUSED_PAD src0_sel:WORD_1 src1_sel:DWORD
	v_add_f16_e32 v39, v39, v41
	v_fmamk_f16 v41, v33, 0x2de8, v107
	v_mul_f16_sdwa v93, v104, v160 dst_sel:DWORD dst_unused:UNUSED_PAD src0_sel:WORD_1 src1_sel:DWORD
	v_mul_f16_sdwa v113, v104, v97 dst_sel:DWORD dst_unused:UNUSED_PAD src0_sel:WORD_1 src1_sel:DWORD
	;; [unrolled: 1-line block ×4, first 2 shown]
	v_add_f16_e32 v41, v41, v0
	v_mul_f16_sdwa v69, v134, v136 dst_sel:DWORD dst_unused:UNUSED_PAD src0_sel:WORD_1 src1_sel:DWORD
	v_mov_b32_e32 v147, 0x3bf7
	v_mov_b32_e32 v145, 0x3a62
	v_mul_f16_sdwa v110, v135, v138 dst_sel:DWORD dst_unused:UNUSED_PAD src0_sel:WORD_1 src1_sel:DWORD
	v_add_f16_e32 v41, v42, v41
	v_fmamk_f16 v42, v33, 0xb461, v116
	v_mul_f16_sdwa v111, v134, v147 dst_sel:DWORD dst_unused:UNUSED_PAD src0_sel:WORD_1 src1_sel:DWORD
	v_mul_f16_sdwa v68, v135, v145 dst_sel:DWORD dst_unused:UNUSED_PAD src0_sel:WORD_1 src1_sel:DWORD
	;; [unrolled: 1-line block ×4, first 2 shown]
	v_add_f16_e32 v42, v42, v0
	v_mul_f16_sdwa v124, v96, v94 dst_sel:DWORD dst_unused:UNUSED_PAD src0_sel:WORD_1 src1_sel:DWORD
	v_mul_f16_sdwa v123, v98, v141 dst_sel:DWORD dst_unused:UNUSED_PAD src0_sel:WORD_1 src1_sel:DWORD
	;; [unrolled: 1-line block ×4, first 2 shown]
	v_add_f16_e32 v42, v43, v42
	v_fmamk_f16 v43, v48, 0xb461, v106
	v_fmamk_f16 v44, v34, 0xb461, v123
	v_mul_f16_sdwa v122, v102, v138 dst_sel:DWORD dst_unused:UNUSED_PAD src0_sel:WORD_1 src1_sel:DWORD
	v_fmamk_f16 v108, v34, 0x3722, v131
	v_mul_f16_sdwa v132, v102, v95 dst_sel:DWORD dst_unused:UNUSED_PAD src0_sel:WORD_1 src1_sel:DWORD
	v_add_f16_e32 v41, v43, v41
	v_fmamk_f16 v43, v48, 0x39e9, v114
	v_mul_f16_sdwa v121, v104, v136 dst_sel:DWORD dst_unused:UNUSED_PAD src0_sel:WORD_1 src1_sel:DWORD
	v_mul_f16_sdwa v129, v104, v145 dst_sel:DWORD dst_unused:UNUSED_PAD src0_sel:WORD_1 src1_sel:DWORD
	;; [unrolled: 1-line block ×4, first 2 shown]
	v_add_f16_e32 v42, v43, v42
	v_fmamk_f16 v43, v49, 0x3b76, v93
	v_mul_f16_sdwa v119, v134, v99 dst_sel:DWORD dst_unused:UNUSED_PAD src0_sel:WORD_1 src1_sel:DWORD
	v_mul_f16_sdwa v127, v134, v100 dst_sel:DWORD dst_unused:UNUSED_PAD src0_sel:WORD_1 src1_sel:DWORD
	;; [unrolled: 1-line block ×4, first 2 shown]
	v_add_f16_e32 v41, v43, v41
	v_fmamk_f16 v43, v49, 0x3722, v113
	v_mul_f16_sdwa v117, v103, v140 dst_sel:DWORD dst_unused:UNUSED_PAD src0_sel:WORD_1 src1_sel:DWORD
	v_mul_f16_sdwa v125, v103, v137 dst_sel:DWORD dst_unused:UNUSED_PAD src0_sel:WORD_1 src1_sel:DWORD
	v_pk_add_f16 v142, v29, v30
	v_pk_add_f16 v166, v30, v29 neg_lo:[0,1] neg_hi:[0,1]
	v_add_f16_e32 v42, v43, v42
	v_fmamk_f16 v43, v52, 0x3722, v70
	v_pk_add_f16 v171, v31, v28 neg_lo:[0,1] neg_hi:[0,1]
	v_pk_add_f16 v146, v27, v24
	v_pk_add_f16 v175, v24, v27 neg_lo:[0,1] neg_hi:[0,1]
	v_pk_add_f16 v182, v17, v101 neg_lo:[0,1] neg_hi:[0,1]
	v_add_f16_e32 v41, v43, v41
	v_fmamk_f16 v43, v52, 0xbbdd, v112
	v_pk_add_f16 v179, v20, v23 neg_lo:[0,1] neg_hi:[0,1]
	v_pk_add_f16 v183, v101, v17
	v_mul_f16_sdwa v184, v182, v138 dst_sel:DWORD dst_unused:UNUSED_PAD src0_sel:WORD_1 src1_sel:DWORD
	v_pk_add_f16 v149, v23, v20
	v_add_f16_e32 v42, v43, v42
	v_fmamk_f16 v43, v57, 0xbacd, v69
	v_pk_add_f16 v148, v22, v21
	v_pk_add_f16 v176, v21, v22 neg_lo:[0,1] neg_hi:[0,1]
	v_lshrrev_b32_e32 v187, 16, v183
	v_mul_f16_e32 v188, 0xb964, v182
	v_add_f16_e32 v41, v43, v41
	v_fmamk_f16 v43, v57, 0x2de8, v111
	v_pk_add_f16 v174, v25, v26 neg_lo:[0,1] neg_hi:[0,1]
	v_mul_f16_sdwa v151, v176, v97 dst_sel:DWORD dst_unused:UNUSED_PAD src0_sel:WORD_1 src1_sel:DWORD
	v_mul_f16_sdwa v153, v175, v95 dst_sel:DWORD dst_unused:UNUSED_PAD src0_sel:WORD_1 src1_sel:DWORD
	v_pk_mul_f16 v162, 0xb8d2b461, v142
	v_add_f16_e32 v42, v43, v42
	v_fmamk_f16 v43, v59, 0xb8d2, v68
	v_mul_f16_e32 v164, 0x3836, v174
	v_lshrrev_b32_e32 v167, 16, v142
	v_mul_f16_e32 v168, 0x3bb2, v166
	buffer_store_dword v35, off, s[20:23], 0 offset:28 ; 4-byte Folded Spill
	v_add_f16_e32 v41, v43, v41
	v_fmamk_f16 v43, v59, 0x3b76, v110
	s_waitcnt_vscnt null, 0x0
	s_barrier
	buffer_gl0_inv
	v_mul_f16_e32 v194, 0xba62, v179
	v_add_f16_e32 v43, v43, v42
	v_fmamk_f16 v42, v61, 0x39e9, v67
	v_mul_f16_sdwa v197, v179, v100 dst_sel:DWORD dst_unused:UNUSED_PAD src0_sel:WORD_1 src1_sel:DWORD
	v_mul_f16_e32 v200, 0xb1e1, v179
	v_mul_f16_sdwa v144, v176, v144 dst_sel:DWORD dst_unused:UNUSED_PAD src0_sel:WORD_1 src1_sel:DWORD
	v_mul_f16_sdwa v160, v175, v160 dst_sel:DWORD dst_unused:UNUSED_PAD src0_sel:WORD_1 src1_sel:DWORD
	v_add_f16_e32 v42, v42, v41
	v_fmamk_f16 v41, v61, 0xb8d2, v109
	v_fma_f16 v198, v149, 0xbbdd, -v197
	v_mul_f16_sdwa v143, v179, v143 dst_sel:DWORD dst_unused:UNUSED_PAD src0_sel:WORD_1 src1_sel:DWORD
	v_mul_f16_e32 v228, 0x3bb2, v179
	v_fmac_f16_e32 v197, 0xbbdd, v149
	v_add_f16_e32 v41, v41, v43
	v_fmamk_f16 v43, v33, 0xb8d2, v124
	v_add_f16_e32 v43, v43, v0
	v_add_f16_e32 v43, v44, v43
	v_fmamk_f16 v44, v33, 0xbacd, v130
	v_add_f16_e32 v44, v44, v0
	;; [unrolled: 3-line block ×3, first 2 shown]
	v_fmamk_f16 v108, v48, 0x2de8, v132
	v_add_f16_e32 v44, v108, v44
	v_fmamk_f16 v108, v49, 0xbacd, v121
	v_add_f16_e32 v43, v108, v43
	;; [unrolled: 2-line block ×11, first 2 shown]
	v_pk_add_f16 v108, v16, v17
	v_fma_f16 v17, v183, 0x3b76, -v184
	v_fmac_f16_e32 v184, 0x3b76, v183
	v_pk_add_f16 v108, v108, v20
	v_add_f16_e32 v17, v16, v17
	v_pk_add_f16 v108, v108, v21
	v_pk_add_f16 v108, v108, v24
	;; [unrolled: 1-line block ×12, first 2 shown]
	v_lshrrev_b32_e32 v163, 16, v29
	v_pk_add_f16 v24, v24, v27
	v_pk_add_f16 v20, v24, v22
	v_mul_f16_sdwa v22, v179, v99 dst_sel:DWORD dst_unused:UNUSED_PAD src0_sel:WORD_1 src1_sel:DWORD
	v_pk_add_f16 v180, v20, v23
	v_fma_f16 v20, v149, 0x39e9, -v22
	v_fmac_f16_e32 v22, 0x39e9, v149
	v_add_f16_e32 v21, v20, v17
	v_pk_mul_f16 v17, 0x3b7639e9, v183
	v_pk_fma_f16 v185, 0xb964b5c8, v182, v17 op_sel:[0,0,1] op_sel_hi:[1,1,0] neg_lo:[0,1,0] neg_hi:[0,1,0]
	v_pk_fma_f16 v186, 0xb964b5c8, v182, v17 op_sel:[0,0,1] op_sel_hi:[1,1,0]
	v_pk_mul_f16 v17, 0x39e92de8, v149
	v_bfi_b32 v20, 0xffff, v186, v185
	v_pk_fma_f16 v150, 0xbbf7b964, v179, v17 op_sel:[0,0,1] op_sel_hi:[1,1,0] neg_lo:[0,1,0] neg_hi:[0,1,0]
	v_pk_fma_f16 v17, 0xbbf7b964, v179, v17 op_sel:[0,0,1] op_sel_hi:[1,1,0]
	v_pk_add_f16 v20, v16, v20 op_sel:[1,0] op_sel_hi:[0,1]
	v_bfi_b32 v23, 0xffff, v17, v150
	v_pk_add_f16 v24, v23, v20
	v_fmamk_f16 v20, v187, 0x39e9, v188
	v_mul_f16_e32 v23, 0xbbf7, v179
	v_add_f16_sdwa v25, v16, v20 dst_sel:DWORD dst_unused:UNUSED_PAD src0_sel:WORD_1 src1_sel:DWORD
	v_lshrrev_b32_e32 v20, 16, v149
	v_fmamk_f16 v26, v20, 0x2de8, v23
	v_fmamk_f16 v195, v20, 0xb8d2, v194
	;; [unrolled: 1-line block ×4, first 2 shown]
	v_add_f16_e32 v27, v26, v25
	v_fma_f16 v25, v148, 0x3722, -v151
	v_mul_f16_e32 v26, 0xba62, v176
	v_fmac_f16_e32 v151, 0x3722, v148
	v_add_f16_e32 v28, v25, v21
	v_pk_mul_f16 v21, 0x3722b8d2, v148
	v_pk_fma_f16 v152, 0xba62bb29, v176, v21 op_sel:[0,0,1] op_sel_hi:[1,1,0] neg_lo:[0,1,0] neg_hi:[0,1,0]
	v_pk_fma_f16 v21, 0xba62bb29, v176, v21 op_sel:[0,0,1] op_sel_hi:[1,1,0]
	v_bfi_b32 v25, 0xffff, v21, v152
	v_pk_add_f16 v31, v25, v24
	v_lshrrev_b32_e32 v25, 16, v148
	v_fmamk_f16 v24, v25, 0xb8d2, v26
	v_add_f16_e32 v27, v24, v27
	v_fma_f16 v24, v146, 0x2de8, -v153
	v_fmac_f16_e32 v153, 0x2de8, v146
	v_add_f16_e32 v108, v24, v28
	v_pk_mul_f16 v24, 0x2de8bbdd, v146
	v_pk_fma_f16 v154, 0xb1e1bbf7, v175, v24 op_sel:[0,0,1] op_sel_hi:[1,1,0] neg_lo:[0,1,0] neg_hi:[0,1,0]
	v_pk_fma_f16 v24, 0xb1e1bbf7, v175, v24 op_sel:[0,0,1] op_sel_hi:[1,1,0]
	v_bfi_b32 v28, 0xffff, v24, v154
	v_pk_add_f16 v157, v28, v31
	v_lshrrev_b32_e32 v28, 16, v146
	v_mul_f16_e32 v31, 0xb1e1, v175
	v_fmamk_f16 v155, v28, 0xbbdd, v31
	v_add_f16_e32 v158, v155, v27
	v_mul_f16_sdwa v155, v174, v137 dst_sel:DWORD dst_unused:UNUSED_PAD src0_sel:WORD_1 src1_sel:DWORD
	v_fma_f16 v27, v29, 0xb461, -v155
	v_fmac_f16_e32 v155, 0xb461, v29
	v_add_f16_e32 v108, v27, v108
	v_pk_mul_f16 v27, 0xb461bacd, v29
	v_pk_fma_f16 v156, 0x3836bbb2, v174, v27 op_sel:[0,0,1] op_sel_hi:[1,1,0] neg_lo:[0,1,0] neg_hi:[0,1,0]
	v_pk_fma_f16 v27, 0x3836bbb2, v174, v27 op_sel:[0,0,1] op_sel_hi:[1,1,0]
	v_bfi_b32 v159, 0xffff, v27, v156
	v_pk_add_f16 v159, v159, v157
	v_fmamk_f16 v157, v163, 0xbacd, v164
	v_add_f16_e32 v161, v157, v158
	v_mul_f16_sdwa v157, v166, v94 dst_sel:DWORD dst_unused:UNUSED_PAD src0_sel:WORD_1 src1_sel:DWORD
	v_fma_f16 v158, v142, 0xb8d2, -v157
	v_fmac_f16_e32 v157, 0xb8d2, v142
	v_add_f16_e32 v108, v158, v108
	v_pk_fma_f16 v158, 0x3bb2ba62, v166, v162 op_sel:[0,0,1] op_sel_hi:[1,1,0] neg_lo:[0,1,0] neg_hi:[0,1,0]
	v_pk_fma_f16 v162, 0x3bb2ba62, v166, v162 op_sel:[0,0,1] op_sel_hi:[1,1,0]
	v_bfi_b32 v165, 0xffff, v162, v158
	v_pk_add_f16 v169, v165, v159
	v_fmamk_f16 v159, v167, 0xb461, v168
	v_pk_mul_f16 v165, 0xbacd3722, v30
	v_add_f16_e32 v172, v159, v161
	v_mul_f16_sdwa v159, v171, v136 dst_sel:DWORD dst_unused:UNUSED_PAD src0_sel:WORD_1 src1_sel:DWORD
	v_fma_f16 v161, v30, 0xbacd, -v159
	v_fmac_f16_e32 v159, 0xbacd, v30
	v_add_f16_e32 v108, v161, v108
	v_pk_fma_f16 v161, 0x3b29b836, v171, v165 op_sel:[0,0,1] op_sel_hi:[1,1,0] neg_lo:[0,1,0] neg_hi:[0,1,0]
	v_pk_fma_f16 v165, 0x3b29b836, v171, v165 op_sel:[0,0,1] op_sel_hi:[1,1,0]
	v_bfi_b32 v170, 0xffff, v165, v161
	v_pk_add_f16 v173, v170, v169
	v_lshrrev_b32_e32 v169, 16, v30
	v_mul_f16_e32 v170, 0x3b29, v171
	v_fmamk_f16 v177, v169, 0x3722, v170
	v_add_f16_e32 v181, v177, v172
	v_pk_add_f16 v177, v19, v18
	v_pk_add_f16 v18, v18, v19 neg_lo:[0,1] neg_hi:[0,1]
	v_pk_mul_f16 v19, 0xbbdd3b76, v177
	v_pk_fma_f16 v178, 0x35c8b1e1, v18, v19 op_sel:[0,0,1] op_sel_hi:[1,1,0] neg_lo:[0,1,0] neg_hi:[0,1,0]
	v_pk_fma_f16 v172, 0x35c8b1e1, v18, v19 op_sel:[0,0,1] op_sel_hi:[1,1,0]
	v_bfi_b32 v172, 0xffff, v172, v178
	v_pk_add_f16 v189, v172, v173
	v_lshrrev_b32_e32 v172, 16, v177
	v_mul_f16_e32 v173, 0x35c8, v18
	v_fmamk_f16 v190, v172, 0x3b76, v173
	v_add_f16_e32 v190, v190, v181
	v_mul_f16_sdwa v181, v18, v100 dst_sel:DWORD dst_unused:UNUSED_PAD src0_sel:WORD_1 src1_sel:DWORD
	v_alignbit_b32 v190, v190, v189, 16
	v_fma_f16 v191, v177, 0xbbdd, -v181
	v_fmac_f16_e32 v181, 0xbbdd, v177
	v_add_f16_e32 v108, v191, v108
	v_mul_f16_sdwa v191, v179, v94 dst_sel:DWORD dst_unused:UNUSED_PAD src0_sel:WORD_1 src1_sel:DWORD
	v_pack_b32_f16 v189, v108, v189
	v_mul_lo_u16 v108, v88, 17
	v_fma_f16 v192, v149, 0xb8d2, -v191
	v_fmac_f16_e32 v191, 0xb8d2, v149
	v_and_b32_e32 v108, 0xffff, v108
	v_lshl_add_u32 v108, v108, 2, v51
	ds_write2_b32 v108, v189, v190 offset0:1 offset1:2
	v_mul_f16_sdwa v189, v182, v97 dst_sel:DWORD dst_unused:UNUSED_PAD src0_sel:WORD_1 src1_sel:DWORD
	v_fma_f16 v190, v183, 0x3722, -v189
	v_fmac_f16_e32 v189, 0x3722, v183
	v_add_f16_e32 v190, v16, v190
	v_add_f16_e32 v190, v192, v190
	v_mul_f16_e32 v192, 0xbb29, v182
	v_fmamk_f16 v193, v187, 0x3722, v192
	v_add_f16_sdwa v193, v16, v193 dst_sel:DWORD dst_unused:UNUSED_PAD src0_sel:WORD_1 src1_sel:DWORD
	v_add_f16_e32 v193, v195, v193
	v_mul_f16_sdwa v195, v182, v95 dst_sel:DWORD dst_unused:UNUSED_PAD src0_sel:WORD_1 src1_sel:DWORD
	v_fma_f16 v196, v183, 0x2de8, -v195
	v_fmac_f16_e32 v195, 0x2de8, v183
	v_add_f16_e32 v196, v16, v196
	v_add_f16_e32 v196, v198, v196
	v_mul_f16_e32 v198, 0xbbf7, v182
	v_fmamk_f16 v199, v187, 0x2de8, v198
	v_add_f16_sdwa v199, v16, v199 dst_sel:DWORD dst_unused:UNUSED_PAD src0_sel:WORD_1 src1_sel:DWORD
	v_add_f16_e32 v199, v201, v199
	v_fma_f16 v201, v148, 0xbbdd, -v144
	v_fmac_f16_e32 v144, 0xbbdd, v148
	v_add_f16_e32 v190, v201, v190
	v_mul_f16_e32 v201, 0x31e1, v176
	v_fmamk_f16 v202, v25, 0xbbdd, v201
	v_add_f16_e32 v193, v202, v193
	v_mul_f16_sdwa v202, v176, v141 dst_sel:DWORD dst_unused:UNUSED_PAD src0_sel:WORD_1 src1_sel:DWORD
	v_fma_f16 v203, v148, 0xb461, -v202
	v_fmac_f16_e32 v202, 0xb461, v148
	v_add_f16_e32 v196, v203, v196
	v_mul_f16_e32 v203, 0x3bb2, v176
	v_fmamk_f16 v204, v25, 0xb461, v203
	v_add_f16_e32 v199, v204, v199
	v_mul_f16_sdwa v204, v175, v141 dst_sel:DWORD dst_unused:UNUSED_PAD src0_sel:WORD_1 src1_sel:DWORD
	v_mul_f16_sdwa v141, v179, v141 dst_sel:DWORD dst_unused:UNUSED_PAD src0_sel:WORD_1 src1_sel:DWORD
	v_fma_f16 v205, v146, 0xb461, -v204
	v_fma_f16 v226, v149, 0xb461, -v141
	v_fmac_f16_e32 v141, 0xb461, v149
	v_fmac_f16_e32 v204, 0xb461, v146
	v_add_f16_e32 v190, v205, v190
	v_mul_f16_e32 v205, 0x3bb2, v175
	v_fmamk_f16 v206, v28, 0xb461, v205
	v_add_f16_e32 v193, v206, v193
	v_fma_f16 v206, v146, 0x3b76, -v160
	v_fmac_f16_e32 v160, 0x3b76, v146
	v_add_f16_e32 v196, v206, v196
	v_mul_f16_e32 v206, 0x35c8, v175
	v_fmamk_f16 v207, v28, 0x3b76, v206
	v_add_f16_e32 v199, v207, v199
	v_mul_f16_sdwa v207, v174, v139 dst_sel:DWORD dst_unused:UNUSED_PAD src0_sel:WORD_1 src1_sel:DWORD
	v_fma_f16 v208, v29, 0x39e9, -v207
	v_fmac_f16_e32 v207, 0x39e9, v29
	v_add_f16_e32 v190, v208, v190
	v_mul_f16_e32 v208, 0x3964, v174
	v_fmamk_f16 v209, v163, 0x39e9, v208
	v_add_f16_e32 v193, v209, v193
	v_mul_f16_sdwa v209, v174, v97 dst_sel:DWORD dst_unused:UNUSED_PAD src0_sel:WORD_1 src1_sel:DWORD
	;; [unrolled: 7-line block ×6, first 2 shown]
	v_mul_f16_sdwa v145, v175, v145 dst_sel:DWORD dst_unused:UNUSED_PAD src0_sel:WORD_1 src1_sel:DWORD
	v_fma_f16 v218, v30, 0xb8d2, -v217
	v_fmac_f16_e32 v217, 0xb8d2, v30
	v_add_f16_e32 v196, v218, v196
	v_mul_f16_e32 v218, 0x3a62, v171
	v_fmamk_f16 v219, v169, 0xb8d2, v218
	v_add_f16_e32 v199, v219, v199
	v_mul_f16_sdwa v219, v18, v136 dst_sel:DWORD dst_unused:UNUSED_PAD src0_sel:WORD_1 src1_sel:DWORD
	v_fma_f16 v220, v177, 0xbacd, -v219
	v_fmac_f16_e32 v219, 0xbacd, v177
	v_add_f16_e32 v190, v220, v190
	v_mul_f16_sdwa v220, v18, v139 dst_sel:DWORD dst_unused:UNUSED_PAD src0_sel:WORD_1 src1_sel:DWORD
	v_fma_f16 v221, v177, 0x39e9, -v220
	v_fmac_f16_e32 v220, 0x39e9, v177
	v_add_f16_e32 v196, v221, v196
	v_mul_f16_e32 v221, 0x3964, v18
	v_fmamk_f16 v222, v172, 0x39e9, v221
	v_add_f16_e32 v199, v222, v199
	v_mul_f16_e32 v222, 0xbacd, v172
	v_pack_b32_f16 v196, v196, v199
	v_fmamk_f16 v223, v18, 0xb836, v222
	v_add_f16_e32 v193, v223, v193
	v_mul_f16_e32 v223, 0x3836, v179
	v_pack_b32_f16 v190, v190, v193
	v_fmamk_f16 v224, v20, 0xbacd, v223
	ds_write2_b32 v108, v190, v196 offset0:3 offset1:4
	v_mul_f16_sdwa v190, v182, v137 dst_sel:DWORD dst_unused:UNUSED_PAD src0_sel:WORD_1 src1_sel:DWORD
	v_fma_f16 v196, v149, 0xbacd, -v143
	v_fmac_f16_e32 v143, 0xbacd, v149
	v_fma_f16 v193, v183, 0xb461, -v190
	v_fmac_f16_e32 v190, 0xb461, v183
	v_add_f16_e32 v193, v16, v193
	v_add_f16_e32 v193, v196, v193
	v_mul_f16_e32 v196, 0xbbb2, v182
	v_fmamk_f16 v199, v187, 0xb461, v196
	v_add_f16_sdwa v199, v16, v199 dst_sel:DWORD dst_unused:UNUSED_PAD src0_sel:WORD_1 src1_sel:DWORD
	v_add_f16_e32 v199, v224, v199
	v_mul_f16_sdwa v224, v182, v94 dst_sel:DWORD dst_unused:UNUSED_PAD src0_sel:WORD_1 src1_sel:DWORD
	v_fma_f16 v225, v183, 0xb8d2, -v224
	v_fmac_f16_e32 v224, 0xb8d2, v183
	v_add_f16_e32 v225, v16, v225
	v_add_f16_e32 v225, v226, v225
	v_mul_f16_e32 v226, 0xba62, v182
	v_fmamk_f16 v227, v187, 0xb8d2, v226
	v_add_f16_sdwa v227, v16, v227 dst_sel:DWORD dst_unused:UNUSED_PAD src0_sel:WORD_1 src1_sel:DWORD
	v_add_f16_e32 v227, v229, v227
	v_mul_f16_sdwa v229, v176, v139 dst_sel:DWORD dst_unused:UNUSED_PAD src0_sel:WORD_1 src1_sel:DWORD
	v_fma_f16 v230, v148, 0x39e9, -v229
	v_fmac_f16_e32 v229, 0x39e9, v148
	v_add_f16_e32 v193, v230, v193
	v_mul_f16_e32 v230, 0x3964, v176
	v_fmamk_f16 v231, v25, 0x39e9, v230
	v_add_f16_e32 v199, v231, v199
	v_mul_f16_sdwa v231, v176, v138 dst_sel:DWORD dst_unused:UNUSED_PAD src0_sel:WORD_1 src1_sel:DWORD
	v_fma_f16 v232, v148, 0x3b76, -v231
	v_fmac_f16_e32 v231, 0x3b76, v148
	v_add_f16_e32 v225, v232, v225
	v_mul_f16_e32 v232, 0xb5c8, v176
	v_fmamk_f16 v233, v25, 0x3b76, v232
	v_add_f16_e32 v227, v233, v227
	v_mul_f16_sdwa v233, v175, v97 dst_sel:DWORD dst_unused:UNUSED_PAD src0_sel:WORD_1 src1_sel:DWORD
	v_fma_f16 v234, v146, 0x3722, -v233
	v_fmac_f16_e32 v233, 0x3722, v146
	v_add_f16_e32 v193, v234, v193
	v_mul_f16_e32 v234, 0xbb29, v175
	v_fmamk_f16 v235, v28, 0x3722, v234
	v_add_f16_e32 v199, v235, v199
	v_mul_f16_sdwa v235, v175, v136 dst_sel:DWORD dst_unused:UNUSED_PAD src0_sel:WORD_1 src1_sel:DWORD
	v_fma_f16 v236, v146, 0xbacd, -v235
	v_fmac_f16_e32 v235, 0xbacd, v146
	v_add_f16_e32 v225, v236, v225
	v_mul_f16_e32 v236, 0xb836, v175
	v_fmamk_f16 v237, v28, 0xbacd, v236
	v_add_f16_e32 v227, v237, v227
	v_mul_f16_sdwa v237, v174, v100 dst_sel:DWORD dst_unused:UNUSED_PAD src0_sel:WORD_1 src1_sel:DWORD
	v_fma_f16 v238, v29, 0xbbdd, -v237
	v_fmac_f16_e32 v237, 0xbbdd, v29
	v_add_f16_e32 v193, v238, v193
	v_mul_f16_e32 v238, 0xb1e1, v174
	v_fmamk_f16 v239, v163, 0xbbdd, v238
	v_add_f16_e32 v199, v239, v199
	v_mul_f16_sdwa v239, v174, v147 dst_sel:DWORD dst_unused:UNUSED_PAD src0_sel:WORD_1 src1_sel:DWORD
	v_mul_f16_sdwa v147, v166, v147 dst_sel:DWORD dst_unused:UNUSED_PAD src0_sel:WORD_1 src1_sel:DWORD
	v_fma_f16 v240, v29, 0x2de8, -v239
	v_fmac_f16_e32 v239, 0x2de8, v29
	v_add_f16_e32 v225, v240, v225
	v_mul_f16_e32 v240, 0x3bf7, v174
	v_fmamk_f16 v241, v163, 0x2de8, v240
	v_add_f16_e32 v227, v241, v227
	v_fma_f16 v241, v142, 0x2de8, -v147
	v_fmac_f16_e32 v147, 0x2de8, v142
	v_add_f16_e32 v193, v241, v193
	v_mul_f16_e32 v241, 0x3bf7, v166
	v_fmamk_f16 v242, v167, 0x2de8, v241
	v_add_f16_e32 v199, v242, v199
	v_mul_f16_sdwa v242, v166, v99 dst_sel:DWORD dst_unused:UNUSED_PAD src0_sel:WORD_1 src1_sel:DWORD
	v_fma_f16 v243, v142, 0x39e9, -v242
	v_fmac_f16_e32 v242, 0x39e9, v142
	v_add_f16_e32 v225, v243, v225
	v_mul_f16_e32 v243, 0xb964, v166
	v_fmamk_f16 v244, v167, 0x39e9, v243
	v_add_f16_e32 v227, v244, v227
	v_mul_f16_sdwa v244, v171, v138 dst_sel:DWORD dst_unused:UNUSED_PAD src0_sel:WORD_1 src1_sel:DWORD
	;; [unrolled: 7-line block ×4, first 2 shown]
	v_fma_f16 v249, v177, 0xb8d2, -v248
	v_fmac_f16_e32 v248, 0xb8d2, v177
	v_add_f16_e32 v193, v249, v193
	v_mul_f16_sdwa v249, v18, v140 dst_sel:DWORD dst_unused:UNUSED_PAD src0_sel:WORD_1 src1_sel:DWORD
	v_mul_f16_sdwa v140, v179, v140 dst_sel:DWORD dst_unused:UNUSED_PAD src0_sel:WORD_1 src1_sel:DWORD
	v_fma_f16 v250, v177, 0x3722, -v249
	v_fmac_f16_e32 v249, 0x3722, v177
	v_add_f16_e32 v225, v250, v225
	v_mul_f16_e32 v250, 0x3b29, v18
	v_fmamk_f16 v251, v172, 0x3722, v250
	v_add_f16_e32 v227, v251, v227
	v_mul_f16_e32 v251, 0xba62, v18
	v_pack_b32_f16 v225, v225, v227
	v_fmamk_f16 v252, v172, 0xb8d2, v251
	v_add_f16_e32 v199, v252, v199
	v_mul_f16_e32 v252, 0x3b29, v179
	v_pack_b32_f16 v193, v193, v199
	v_fmamk_f16 v253, v20, 0x3722, v252
	ds_write2_b32 v108, v193, v225 offset0:5 offset1:6
	v_mul_f16_sdwa v193, v182, v136 dst_sel:DWORD dst_unused:UNUSED_PAD src0_sel:WORD_1 src1_sel:DWORD
	v_fma_f16 v225, v149, 0x3722, -v140
	v_fmac_f16_e32 v140, 0x3722, v149
	v_fma_f16 v199, v183, 0xbacd, -v193
	v_fmac_f16_e32 v193, 0xbacd, v183
	v_pk_mul_f16 v183, 0xbbdd, v183 op_sel_hi:[0,1]
	v_add_f16_e32 v199, v16, v199
	v_add_f16_e32 v199, v225, v199
	v_mul_f16_e32 v225, 0xb836, v182
	v_fmamk_f16 v227, v187, 0xbacd, v225
	v_add_f16_sdwa v227, v16, v227 dst_sel:DWORD dst_unused:UNUSED_PAD src0_sel:WORD_1 src1_sel:DWORD
	v_add_f16_e32 v227, v253, v227
	v_mul_f16_sdwa v253, v176, v95 dst_sel:DWORD dst_unused:UNUSED_PAD src0_sel:WORD_1 src1_sel:DWORD
	v_fma_f16 v254, v148, 0x2de8, -v253
	v_fmac_f16_e32 v253, 0x2de8, v148
	v_add_f16_e32 v199, v254, v199
	v_mul_f16_e32 v254, 0xbbf7, v176
	v_fmamk_f16 v255, v25, 0x2de8, v254
	v_add_f16_e32 v227, v255, v227
	v_fma_f16 v255, v146, 0xb8d2, -v145
	v_fmac_f16_e32 v145, 0xb8d2, v146
	v_add_f16_e32 v199, v255, v199
	v_mul_f16_e32 v255, 0x3a62, v175
	v_fmamk_f16 v71, v28, 0xb8d2, v255
	v_add_f16_e32 v71, v71, v227
	v_mul_f16_sdwa v227, v174, v138 dst_sel:DWORD dst_unused:UNUSED_PAD src0_sel:WORD_1 src1_sel:DWORD
	v_fma_f16 v73, v29, 0x3b76, -v227
	v_fmac_f16_e32 v227, 0x3b76, v29
	v_add_f16_e32 v73, v73, v199
	v_mul_f16_e32 v199, 0xb5c8, v174
	v_fmamk_f16 v92, v163, 0x3b76, v199
	v_add_f16_e32 v71, v92, v71
	v_mul_f16_sdwa v92, v166, v100 dst_sel:DWORD dst_unused:UNUSED_PAD src0_sel:WORD_1 src1_sel:DWORD
	v_fma_f16 v35, v142, 0xbbdd, -v92
	v_fmac_f16_e32 v92, 0xbbdd, v142
	v_add_f16_e32 v35, v35, v73
	v_mul_f16_e32 v73, 0xb1e1, v166
	v_fmamk_f16 v45, v167, 0xbbdd, v73
	v_fma_f16 v73, v167, 0xbbdd, -v73
	v_add_f16_e32 v45, v45, v71
	v_mul_f16_sdwa v71, v171, v139 dst_sel:DWORD dst_unused:UNUSED_PAD src0_sel:WORD_1 src1_sel:DWORD
	v_fma_f16 v139, v30, 0x39e9, -v71
	v_fmac_f16_e32 v71, 0x39e9, v30
	v_add_f16_e32 v35, v139, v35
	v_mul_f16_e32 v139, 0x3964, v171
	v_fmamk_f16 v46, v169, 0x39e9, v139
	v_add_f16_e32 v45, v46, v45
	v_mul_f16_sdwa v46, v18, v137 dst_sel:DWORD dst_unused:UNUSED_PAD src0_sel:WORD_1 src1_sel:DWORD
	v_fma_f16 v47, v177, 0xb461, -v46
	v_fmac_f16_e32 v46, 0xb461, v177
	v_add_f16_e32 v35, v47, v35
	v_mul_f16_e32 v47, 0xbbb2, v18
	v_fmamk_f16 v50, v172, 0xb461, v47
	v_fma_f16 v47, v172, 0xb461, -v47
	v_add_f16_e32 v45, v50, v45
	v_pk_add_f16 v50, v180, v101
	v_fma_f16 v101, v187, 0xb461, -v196
	v_fma_f16 v180, v187, 0xb8d2, -v226
	v_mul_f16_e32 v196, 0xb836, v96
	v_pack_b32_f16 v35, v35, v45
	v_fma_f16 v45, v187, 0x3722, -v192
	v_add_f16_sdwa v101, v16, v101 dst_sel:DWORD dst_unused:UNUSED_PAD src0_sel:WORD_1 src1_sel:DWORD
	v_add_f16_sdwa v180, v16, v180 dst_sel:DWORD dst_unused:UNUSED_PAD src0_sel:WORD_1 src1_sel:DWORD
	v_add_f16_e32 v192, v16, v193
	ds_write2_b32 v108, v50, v35 offset1:7
	v_fma_f16 v35, v187, 0x39e9, -v188
	v_fma_f16 v50, v187, 0x2de8, -v198
	;; [unrolled: 1-line block ×3, first 2 shown]
	v_pk_fma_f16 v188, 0xb1e1, v182, v183 op_sel:[0,0,1] op_sel_hi:[0,1,0] neg_lo:[0,1,0] neg_hi:[0,1,0]
	v_pk_fma_f16 v182, 0xb1e1, v182, v183 op_sel:[0,0,1] op_sel_hi:[0,1,0]
	v_add_f16_e32 v225, v16, v184
	v_pk_add_f16 v183, v16, v186 op_sel:[1,0] op_sel_hi:[0,1]
	v_add_f16_sdwa v35, v16, v35 dst_sel:DWORD dst_unused:UNUSED_PAD src0_sel:WORD_1 src1_sel:DWORD
	v_add_f16_e32 v184, v16, v189
	v_add_f16_sdwa v45, v16, v45 dst_sel:DWORD dst_unused:UNUSED_PAD src0_sel:WORD_1 src1_sel:DWORD
	v_add_f16_e32 v186, v16, v195
	v_add_f16_sdwa v50, v16, v50 dst_sel:DWORD dst_unused:UNUSED_PAD src0_sel:WORD_1 src1_sel:DWORD
	v_add_f16_e32 v189, v16, v190
	v_add_f16_e32 v190, v16, v224
	v_add_f16_sdwa v187, v16, v187 dst_sel:DWORD dst_unused:UNUSED_PAD src0_sel:WORD_1 src1_sel:DWORD
	v_add_f16_sdwa v224, v16, v185 dst_sel:DWORD dst_unused:UNUSED_PAD src0_sel:WORD_1 src1_sel:DWORD
	v_pk_add_f16 v185, v16, v188 op_sel:[1,0] op_sel_hi:[0,1]
	v_pk_add_f16 v16, v16, v182 op_sel:[1,0] op_sel_hi:[0,1]
	v_pk_mul_f16 v182, 0x3b76, v149 op_sel_hi:[0,1]
	v_add_f16_e32 v140, v140, v192
	v_pk_add_f16 v17, v17, v183
	v_mul_f16_e32 v183, 0xbbb2, v96
	v_mul_f16_e32 v192, 0xba62, v96
	v_pk_fma_f16 v188, 0x35c8, v179, v182 op_sel:[0,0,1] op_sel_hi:[0,1,0] neg_lo:[0,1,0] neg_hi:[0,1,0]
	v_pk_fma_f16 v179, 0x35c8, v179, v182 op_sel:[0,0,1] op_sel_hi:[0,1,0]
	v_add_f16_e32 v140, v253, v140
	v_pk_add_f16 v17, v21, v17
	v_fma_f16 v21, v28, 0xbbdd, -v31
	v_pk_add_f16 v182, v188, v185
	v_pk_add_f16 v16, v179, v16
	v_pk_mul_f16 v179, 0xbacd, v148 op_sel_hi:[0,1]
	v_add_f16_e32 v140, v145, v140
	v_fma_f16 v145, v28, 0xb8d2, -v255
	v_pk_add_f16 v17, v24, v17
	v_mul_f16_e32 v193, 0xb1e1, v133
	v_pk_fma_f16 v185, 0xb836, v176, v179 op_sel:[0,0,1] op_sel_hi:[0,1,0] neg_lo:[0,1,0] neg_hi:[0,1,0]
	v_pk_fma_f16 v176, 0xb836, v176, v179 op_sel:[0,0,1] op_sel_hi:[0,1,0]
	v_add_f16_e32 v140, v227, v140
	v_pk_add_f16 v17, v27, v17
	v_mul_f16_e32 v27, 0xb964, v96
	v_pk_add_f16 v179, v185, v182
	v_pk_add_f16 v16, v176, v16
	v_pk_mul_f16 v176, 0x39e9, v146 op_sel_hi:[0,1]
	v_add_f16_e32 v92, v92, v140
	v_fma_f16 v140, v169, 0xbbdd, -v247
	v_pk_add_f16 v17, v162, v17
	v_mul_f16_e32 v162, 0x31e1, v102
	v_pk_fma_f16 v182, 0x3964, v175, v176 op_sel:[0,0,1] op_sel_hi:[0,1,0] neg_lo:[0,1,0] neg_hi:[0,1,0]
	v_pk_fma_f16 v175, 0x3964, v175, v176 op_sel:[0,0,1] op_sel_hi:[0,1,0]
	v_add_f16_e32 v71, v71, v92
	v_fma_f16 v92, v169, 0x39e9, -v139
	v_lshrrev_b32_e32 v139, 16, v48
	v_pk_add_f16 v176, v182, v179
	v_pk_add_f16 v16, v175, v16
	v_pk_mul_f16 v175, 0xb8d2, v29 op_sel_hi:[0,1]
	v_add_f16_e32 v46, v46, v71
	v_fma_f16 v71, v25, 0xb461, -v203
	v_mul_f16_e32 v182, 0x3836, v98
	v_mul_f16_e32 v185, 0xbb29, v133
	v_pk_fma_f16 v179, 0xba62, v174, v175 op_sel:[0,0,1] op_sel_hi:[0,1,0] neg_lo:[0,1,0] neg_hi:[0,1,0]
	v_pk_fma_f16 v174, 0xba62, v174, v175 op_sel:[0,0,1] op_sel_hi:[0,1,0]
	v_mul_f16_e32 v195, 0x3bf7, v134
	v_mul_f16_e32 v203, 0xb964, v134
	;; [unrolled: 1-line block ×3, first 2 shown]
	v_pk_add_f16 v175, v179, v176
	v_pk_add_f16 v16, v174, v16
	v_pk_mul_f16 v174, 0x3722, v142 op_sel_hi:[0,1]
	v_mul_f16_e32 v179, 0xb5c8, v134
	v_mul_f16_e32 v198, 0x3964, v103
	v_pk_mul_f16 v149, 0xb461b8d2, v52
	v_mul_f16_e32 v148, 0xba62, v103
	v_pk_fma_f16 v176, 0x3b29, v166, v174 op_sel:[0,0,1] op_sel_hi:[0,1,0] neg_lo:[0,1,0] neg_hi:[0,1,0]
	v_pk_fma_f16 v166, 0x3b29, v166, v174 op_sel:[0,0,1] op_sel_hi:[0,1,0]
	v_pk_mul_f16 v146, 0xb8d23722, v57
	v_add_f16_e32 v22, v22, v225
	v_pk_mul_f16 v142, 0x3bf7b1e1, v103
	v_pk_add_f16 v174, v176, v175
	v_pk_add_f16 v16, v166, v16
	v_pk_mul_f16 v166, 0xb461, v30 op_sel_hi:[0,1]
	v_lshrrev_b32_e32 v176, 16, v61
	v_add_f16_e32 v22, v151, v22
	v_mul_f16_e32 v151, 0xbbb2, v103
	v_pk_fma_f16 v175, 0xbbb2, v171, v166 op_sel:[0,0,1] op_sel_hi:[0,1,0] neg_lo:[0,1,0] neg_hi:[0,1,0]
	v_pk_fma_f16 v166, 0xbbb2, v171, v166 op_sel:[0,0,1] op_sel_hi:[0,1,0]
	v_add_f16_e32 v22, v153, v22
	v_pk_add_f16 v171, v175, v174
	v_pk_add_f16 v16, v166, v16
	v_pk_mul_f16 v166, 0x2de8, v177 op_sel_hi:[0,1]
	v_mul_f16_e32 v175, 0x35c8, v103
	v_add_f16_e32 v22, v155, v22
	v_pk_fma_f16 v174, 0x3bf7, v18, v166 op_sel:[0,0,1] op_sel_hi:[0,1,0] neg_lo:[0,1,0] neg_hi:[0,1,0]
	v_pk_fma_f16 v166, 0x3bf7, v18, v166 op_sel:[0,0,1] op_sel_hi:[0,1,0]
	v_add_f16_e32 v22, v157, v22
	v_pk_add_f16 v171, v174, v171
	v_pk_add_f16 v16, v166, v16
	v_mul_f16_e32 v174, 0x3bb2, v102
	v_add_f16_e32 v22, v159, v22
	v_alignbit_b32 v166, v171, v16, 16
	v_alignbit_b32 v16, v16, v171, 16
	v_fma_f16 v171, v25, 0x3b76, -v232
	v_add_f16_e32 v22, v181, v22
	ds_write2_b32 v108, v16, v166 offset0:8 offset1:9
	v_add_f16_e32 v16, v141, v190
	v_fma_f16 v141, v20, 0xb461, -v228
	v_fma_f16 v166, v20, 0x3722, -v252
	v_mul_f16_e32 v190, 0x3a62, v135
	v_add_f16_e32 v16, v231, v16
	v_add_f16_e32 v141, v141, v180
	;; [unrolled: 1-line block ×3, first 2 shown]
	v_mul_f16_e32 v180, 0x35c8, v104
	v_mul_f16_e32 v187, 0xb836, v134
	v_add_f16_e32 v16, v235, v16
	v_add_f16_e32 v141, v171, v141
	v_fma_f16 v171, v25, 0x2de8, -v254
	v_add_f16_e32 v16, v239, v16
	v_add_f16_e32 v166, v171, v166
	v_fma_f16 v171, v28, 0xbacd, -v236
	v_add_f16_e32 v16, v242, v16
	v_add_f16_e32 v145, v145, v166
	;; [unrolled: 1-line block ×3, first 2 shown]
	v_fma_f16 v166, v163, 0x2de8, -v240
	v_add_f16_e32 v16, v246, v16
	v_pk_mul_f16 v171, 0x2de839e9, v49
	v_add_f16_e32 v141, v166, v141
	v_fma_f16 v166, v163, 0x3b76, -v199
	v_add_f16_e32 v16, v249, v16
	v_mul_f16_e32 v199, 0xb836, v104
	v_add_f16_e32 v145, v166, v145
	v_fma_f16 v166, v167, 0x39e9, -v243
	v_add_f16_e32 v73, v73, v145
	v_add_f16_e32 v141, v166, v141
	v_mul_f16_e32 v145, 0xbb29, v96
	v_mul_f16_e32 v166, 0xbbf7, v96
	v_add_f16_e32 v73, v92, v73
	v_add_f16_e32 v140, v140, v141
	v_fma_f16 v92, v172, 0x3722, -v250
	v_pk_mul_f16 v141, 0x3b29ba62, v134
	v_add_f16_e32 v47, v47, v73
	v_add_f16_e32 v92, v92, v140
	v_mul_f16_e32 v140, 0xba62, v98
	v_pack_b32_f16 v46, v46, v47
	v_add_f16_e32 v47, v143, v189
	v_pack_b32_f16 v16, v16, v92
	v_mul_f16_e32 v143, 0xb1e1, v104
	v_mul_f16_e32 v189, 0xbb29, v104
	v_add_f16_e32 v47, v229, v47
	ds_write2_b32 v108, v46, v16 offset0:10 offset1:11
	v_fma_f16 v46, v20, 0xbbdd, -v200
	v_add_f16_e32 v16, v197, v186
	v_mul_f16_e32 v197, 0x3b29, v98
	v_add_f16_e32 v47, v233, v47
	v_mul_f16_e32 v186, 0x3964, v102
	v_add_f16_e32 v46, v46, v50
	v_fma_f16 v50, v20, 0xbacd, -v223
	v_add_f16_e32 v16, v202, v16
	v_add_f16_e32 v47, v237, v47
	v_mul_f16_e32 v202, 0xbbf7, v102
	v_add_f16_e32 v46, v71, v46
	v_add_f16_e32 v50, v50, v101
	v_fma_f16 v71, v25, 0x39e9, -v230
	v_add_f16_e32 v16, v160, v16
	v_add_f16_e32 v47, v147, v47
	v_lshrrev_b32_e32 v160, 16, v52
	v_mul_f16_e32 v147, 0x3836, v133
	v_add_f16_e32 v50, v71, v50
	v_fma_f16 v71, v28, 0x3b76, -v206
	v_add_f16_e32 v16, v209, v16
	v_add_f16_e32 v47, v244, v47
	v_mul_f16_e32 v206, 0xb5c8, v133
	v_mul_f16_e32 v200, 0xb5c8, v135
	v_add_f16_e32 v46, v71, v46
	v_fma_f16 v71, v28, 0x3722, -v234
	v_add_f16_e32 v16, v213, v16
	v_add_f16_e32 v47, v248, v47
	v_mul_f16_e32 v209, 0xbbb2, v135
	v_add_f16_e32 v50, v71, v50
	v_fma_f16 v71, v163, 0x3722, -v210
	v_add_f16_e32 v16, v217, v16
	v_add_f16_e32 v46, v71, v46
	v_fma_f16 v71, v163, 0xbbdd, -v238
	v_add_f16_e32 v16, v220, v16
	v_add_f16_e32 v50, v71, v50
	v_fma_f16 v71, v167, 0xbacd, -v214
	v_add_f16_e32 v46, v71, v46
	v_fma_f16 v71, v167, 0x2de8, -v241
	v_add_f16_e32 v50, v71, v50
	v_fma_f16 v71, v169, 0xb8d2, -v218
	v_add_f16_e32 v46, v71, v46
	v_fma_f16 v71, v169, 0x3b76, -v245
	v_mov_b32_e32 v245, v51
	v_add_f16_e32 v50, v71, v50
	v_fma_f16 v71, v172, 0x39e9, -v221
	v_add_f16_e32 v46, v71, v46
	v_fma_f16 v71, v172, 0xb8d2, -v251
	v_pack_b32_f16 v16, v16, v46
	v_add_f16_e32 v50, v71, v50
	v_mul_f16_e32 v71, 0x35c8, v98
	v_pack_b32_f16 v46, v47, v50
	v_mul_f16_e32 v50, 0xb1e1, v96
	ds_write2_b32 v108, v46, v16 offset0:12 offset1:13
	v_fma_f16 v16, v20, 0x2de8, -v23
	v_fma_f16 v23, v25, 0xb8d2, -v26
	;; [unrolled: 1-line block ×4, first 2 shown]
	v_add_f16_e32 v26, v191, v184
	v_add_f16_e32 v16, v16, v35
	v_mul_f16_e32 v191, 0x3bb2, v98
	v_add_f16_e32 v20, v20, v45
	v_mul_f16_e32 v194, 0xb5c8, v102
	v_mul_f16_e32 v201, 0x3bf7, v133
	v_add_f16_e32 v16, v23, v16
	v_fma_f16 v23, v28, 0xb461, -v205
	v_add_f16_e32 v20, v25, v20
	v_add_f16_e32 v25, v144, v26
	v_lshrrev_b32_e32 v28, 16, v33
	v_add_f16_e32 v16, v21, v16
	v_fma_f16 v21, v163, 0xbacd, -v164
	v_add_f16_e32 v20, v23, v20
	v_fma_f16 v23, v163, 0x39e9, -v208
	v_add_f16_e32 v24, v204, v25
	v_lshrrev_b32_e32 v26, 16, v34
	v_add_f16_e32 v16, v21, v16
	v_fma_f16 v21, v167, 0xb461, -v168
	v_add_f16_e32 v20, v23, v20
	v_fma_f16 v23, v167, 0x3b76, -v212
	v_add_f16_e32 v24, v207, v24
	v_mul_f16_e32 v25, 0xbbf7, v98
	v_add_f16_e32 v16, v21, v16
	v_fma_f16 v21, v169, 0x2de8, -v216
	v_add_f16_e32 v20, v23, v20
	v_fma_f16 v23, v169, 0x3722, -v170
	v_fma_f16 v73, v26, 0x3b76, -v71
	v_lshrrev_b32_e32 v144, 16, v49
	v_pack_b32_f16 v19, v21, v19
	v_pk_mul_f16 v21, 0x35c8b1e1, v18
	v_mul_f16_e32 v18, 0xb836, v18
	v_add_f16_e32 v16, v23, v16
	v_fma_f16 v23, v172, 0x3b76, -v173
	v_mul_f16_e32 v167, 0x3bb2, v104
	v_bfi_b32 v20, 0xffff, v20, v21
	v_bfi_b32 v18, 0xffff, v18, v17
	v_pk_add_f16 v17, v165, v17
	v_add_f16_e32 v21, v211, v24
	v_add_f16_e32 v16, v23, v16
	v_pk_add_f16 v19, v19, v20
	v_pk_add_f16 v18, v222, v18 neg_lo:[0,1] neg_hi:[0,1]
	v_mul_f16_e32 v165, 0xb1e1, v98
	v_pk_mul_f16 v20, 0xb1e1b5c8, v96
	v_mul_f16_e32 v204, 0x3a62, v104
	v_mul_f16_e32 v173, 0x3964, v133
	v_bfi_b32 v17, 0xffff, v18, v17
	v_add_f16_e32 v18, v215, v21
	v_lshrrev_b32_e32 v164, 16, v57
	v_mul_f16_e32 v163, 0x3bb2, v134
	v_mul_f16_e32 v207, 0xb1e1, v134
	v_pk_add_f16 v17, v17, v19
	v_add_f16_e32 v18, v219, v18
	v_lshrrev_b32_e32 v170, 16, v59
	v_mul_f16_e32 v168, 0x3b29, v135
	v_mul_f16_e32 v184, 0xbbf7, v135
	v_alignbit_b32 v16, v16, v17, 16
	v_pack_b32_f16 v17, v18, v17
	v_mul_f16_e32 v205, 0xb1e1, v135
	v_mul_f16_e32 v208, 0x3964, v135
	v_pk_mul_f16 v169, 0x39e93b76, v34
	v_pk_mul_f16 v172, 0x3722bacd, v48
	ds_write2_b32 v108, v17, v16 offset0:14 offset1:15
	v_mul_f16_sdwa v17, v96, v138 dst_sel:DWORD dst_unused:UNUSED_PAD src0_sel:WORD_1 src1_sel:DWORD
	v_mul_f16_sdwa v16, v98, v99 dst_sel:DWORD dst_unused:UNUSED_PAD src0_sel:WORD_1 src1_sel:DWORD
	v_mul_f16_e32 v138, 0xba62, v102
	v_mul_f16_e32 v99, 0x3964, v104
	v_fmamk_f16 v18, v33, 0x3b76, v17
	v_fmamk_f16 v19, v34, 0x39e9, v16
	v_add_f16_e32 v18, v18, v0
	v_add_f16_e32 v21, v19, v18
	v_fma_f16 v18, v28, 0x39e9, -v27
	v_fma_f16 v19, v26, 0x2de8, -v25
	v_add_f16_sdwa v18, v18, v0 dst_sel:DWORD dst_unused:UNUSED_PAD src0_sel:DWORD src1_sel:WORD_1
	v_add_f16_e32 v23, v19, v18
	v_fma_f16 v18, v28, 0x3722, -v145
	v_fma_f16 v19, v26, 0xb8d2, -v140
	v_add_f16_sdwa v18, v18, v0 dst_sel:DWORD dst_unused:UNUSED_PAD src0_sel:DWORD src1_sel:WORD_1
	;; [unrolled: 4-line block ×6, first 2 shown]
	v_add_f16_e32 v46, v19, v18
	v_pk_fma_f16 v18, 0x3b76bbdd, v33, v20 op_sel:[0,0,1] op_sel_hi:[1,1,0] neg_lo:[0,0,1] neg_hi:[0,0,1]
	v_pk_add_f16 v19, v18, v0
	v_pk_mul_f16 v18, 0x35c8b964, v98
	v_pk_fma_f16 v47, 0x39e93b76, v34, v18 op_sel:[0,0,1] op_sel_hi:[1,1,0] neg_lo:[0,0,1] neg_hi:[0,0,1]
	v_pk_add_f16 v47, v47, v19
	v_fma_f16 v19, v28, 0xbbdd, -v50
	v_fmamk_f16 v50, v28, 0xbbdd, v50
	v_add_f16_sdwa v19, v19, v0 dst_sel:DWORD dst_unused:UNUSED_PAD src0_sel:DWORD src1_sel:WORD_1
	v_pack_b32_f16 v50, v50, v169
	v_add_f16_e32 v73, v73, v19
	v_mul_f16_sdwa v19, v102, v97 dst_sel:DWORD dst_unused:UNUSED_PAD src0_sel:WORD_1 src1_sel:DWORD
	v_mul_f16_e32 v97, 0xb836, v102
	v_fmamk_f16 v92, v48, 0x3722, v19
	v_add_f16_e32 v92, v92, v21
	v_fma_f16 v21, v139, 0xb8d2, -v138
	v_add_f16_e32 v23, v21, v23
	v_fma_f16 v21, v139, 0xbbdd, -v162
	;; [unrolled: 2-line block ×3, first 2 shown]
	v_pk_mul_f16 v24, 0xb836bb29, v102
	v_add_f16_e32 v31, v21, v31
	v_fma_f16 v21, v139, 0x39e9, -v186
	v_add_f16_e32 v35, v21, v35
	v_fma_f16 v21, v139, 0x3b76, -v194
	;; [unrolled: 2-line block ×3, first 2 shown]
	v_add_f16_e32 v46, v21, v46
	v_pk_fma_f16 v21, 0x3722bacd, v48, v24 op_sel:[0,0,1] op_sel_hi:[1,1,0] neg_lo:[0,0,1] neg_hi:[0,0,1]
	v_pk_add_f16 v47, v21, v47
	v_fma_f16 v21, v139, 0xbacd, -v97
	v_add_f16_e32 v73, v21, v73
	v_mul_f16_sdwa v21, v104, v95 dst_sel:DWORD dst_unused:UNUSED_PAD src0_sel:WORD_1 src1_sel:DWORD
	v_fmamk_f16 v95, v49, 0x2de8, v21
	v_add_f16_e32 v92, v95, v92
	v_fma_f16 v95, v144, 0xbbdd, -v143
	v_add_f16_e32 v95, v95, v23
	v_fma_f16 v23, v144, 0xb461, -v167
	;; [unrolled: 2-line block ×4, first 2 shown]
	v_pk_mul_f16 v31, 0x3964bbf7, v104
	v_add_f16_e32 v35, v23, v35
	v_fma_f16 v23, v144, 0xbacd, -v199
	v_add_f16_e32 v45, v23, v45
	v_fma_f16 v23, v144, 0xb8d2, -v204
	v_add_f16_e32 v46, v23, v46
	v_pk_fma_f16 v23, 0x2de839e9, v49, v31 op_sel:[0,0,1] op_sel_hi:[1,1,0] neg_lo:[0,0,1] neg_hi:[0,0,1]
	v_pk_add_f16 v47, v23, v47
	v_fma_f16 v23, v144, 0x39e9, -v99
	v_add_f16_e32 v73, v23, v73
	v_mul_f16_sdwa v23, v133, v137 dst_sel:DWORD dst_unused:UNUSED_PAD src0_sel:WORD_1 src1_sel:DWORD
	v_pk_mul_f16 v137, 0xba62bbb2, v133
	v_fmamk_f16 v101, v52, 0xb461, v23
	v_add_f16_e32 v92, v101, v92
	v_fma_f16 v101, v160, 0xbacd, -v147
	v_add_f16_e32 v95, v101, v95
	v_fma_f16 v101, v160, 0x39e9, -v173
	;; [unrolled: 2-line block ×6, first 2 shown]
	v_add_f16_e32 v46, v101, v46
	v_pk_fma_f16 v101, 0xb461b8d2, v52, v137 op_sel:[0,0,1] op_sel_hi:[1,1,0] neg_lo:[0,0,1] neg_hi:[0,0,1]
	v_pk_add_f16 v47, v101, v47
	v_mul_f16_e32 v101, 0xba62, v133
	v_mul_f16_sdwa v133, v134, v94 dst_sel:DWORD dst_unused:UNUSED_PAD src0_sel:WORD_1 src1_sel:DWORD
	v_fma_f16 v102, v160, 0xb8d2, -v101
	v_fmamk_f16 v94, v57, 0xb8d2, v133
	v_add_f16_e32 v73, v102, v73
	v_add_f16_e32 v92, v94, v92
	v_fma_f16 v94, v164, 0xb461, -v163
	v_mul_f16_e32 v102, 0x3b29, v134
	v_mul_f16_sdwa v134, v135, v136 dst_sel:DWORD dst_unused:UNUSED_PAD src0_sel:WORD_1 src1_sel:DWORD
	v_pk_mul_f16 v136, 0xbbb2b836, v135
	v_mul_f16_sdwa v135, v103, v100 dst_sel:DWORD dst_unused:UNUSED_PAD src0_sel:WORD_1 src1_sel:DWORD
	v_add_f16_e32 v94, v94, v95
	v_fma_f16 v95, v164, 0x3b76, -v179
	v_add_f16_e32 v95, v95, v96
	v_fma_f16 v96, v164, 0xbacd, -v187
	v_add_f16_e32 v96, v96, v98
	v_fma_f16 v98, v164, 0x2de8, -v195
	v_add_f16_e32 v35, v98, v35
	v_fma_f16 v98, v164, 0x39e9, -v203
	v_add_f16_e32 v45, v98, v45
	v_fma_f16 v98, v164, 0xbbdd, -v207
	v_add_f16_e32 v46, v98, v46
	v_pk_fma_f16 v98, 0xb8d23722, v57, v141 op_sel:[0,0,1] op_sel_hi:[1,1,0] neg_lo:[0,0,1] neg_hi:[0,0,1]
	v_pk_add_f16 v47, v98, v47
	v_fma_f16 v98, v164, 0x3722, -v102
	v_add_f16_e32 v73, v98, v73
	v_fmamk_f16 v98, v59, 0xbacd, v134
	v_add_f16_e32 v92, v98, v92
	v_fma_f16 v98, v170, 0x3722, -v168
	v_add_f16_e32 v94, v98, v94
	v_fma_f16 v98, v170, 0x2de8, -v184
	;; [unrolled: 2-line block ×6, first 2 shown]
	v_add_f16_e32 v46, v95, v46
	v_pk_fma_f16 v95, 0xbacdb461, v59, v136 op_sel:[0,0,1] op_sel_hi:[1,1,0] neg_lo:[0,0,1] neg_hi:[0,0,1]
	v_pk_add_f16 v47, v95, v47
	v_fma_f16 v95, v170, 0xb461, -v209
	v_add_f16_e32 v73, v95, v73
	v_fmamk_f16 v95, v61, 0xbbdd, v135
	v_add_f16_e32 v95, v95, v92
	v_pk_fma_f16 v92, 0x3b76bbdd, v33, v20 op_sel:[0,0,1] op_sel_hi:[1,1,0]
	v_pack_b32_f16 v71, v71, v92
	v_mul_f16_e32 v92, 0x3b76, v26
	v_perm_b32 v92, v0, v92, 0x5040100
	v_pk_add_f16 v71, v71, v92
	v_perm_b32 v92, v18, v0, 0x7060302
	v_pk_add_f16 v50, v50, v92
	v_fma_f16 v92, v176, 0x3b76, -v175
	v_pk_add_f16 v50, v50, v71
	v_add_f16_e32 v96, v92, v94
	v_mul_f16_e32 v92, 0xbacd, v139
	v_pack_b32_f16 v71, v97, v172
	v_fma_f16 v94, v176, 0xb8d2, -v148
	v_bfi_b32 v92, 0xffff, v92, v24
	v_pk_add_f16 v71, v71, v92
	v_fma_f16 v92, v176, 0xbacd, -v188
	v_pk_add_f16 v50, v71, v50
	v_add_f16_e32 v97, v92, v98
	v_mul_f16_e32 v92, 0x39e9, v144
	v_pack_b32_f16 v71, v99, v171
	v_add_f16_e32 v99, v94, v35
	v_bfi_b32 v92, 0xffff, v92, v31
	v_pk_add_f16 v71, v71, v92
	v_fma_f16 v92, v176, 0x39e9, -v198
	v_pk_add_f16 v50, v71, v50
	v_add_f16_e32 v98, v92, v104
	v_mul_f16_e32 v92, 0xb8d2, v160
	v_pack_b32_f16 v71, v101, v149
	v_bfi_b32 v92, 0xffff, v92, v137
	v_pk_add_f16 v71, v71, v92
	v_add_f16_e32 v92, v150, v224
	v_mul_f16_e32 v150, 0x3b29, v103
	v_pk_add_f16 v35, v71, v50
	v_add_f16_e32 v50, v152, v92
	v_mul_f16_e32 v92, 0x3722, v164
	v_pack_b32_f16 v71, v102, v146
	v_add_f16_e32 v29, v154, v50
	v_bfi_b32 v92, 0xffff, v92, v141
	v_fma_f16 v50, v176, 0x3722, -v150
	v_pk_add_f16 v71, v71, v92
	v_add_f16_e32 v100, v50, v45
	v_add_f16_e32 v45, v156, v29
	v_pk_mul_f16 v29, 0xbacdb461, v59
	v_pk_add_f16 v35, v71, v35
	v_mul_f16_e32 v71, 0xb461, v170
	v_add_f16_e32 v30, v158, v45
	v_pack_b32_f16 v50, v209, v29
	v_fma_f16 v45, v176, 0xb461, -v151
	v_bfi_b32 v71, 0xffff, v71, v136
	v_add_f16_e32 v102, v45, v46
	v_add_f16_e32 v45, v161, v30
	v_pk_add_f16 v50, v50, v71
	v_mul_f16_e32 v30, 0x2de8, v176
	v_mul_f16_e32 v46, 0x3bf7, v103
	v_add_f16_e32 v45, v178, v45
	v_pk_add_f16 v35, v50, v35
	v_bfi_b32 v50, 0xffff, v30, v142
	v_pk_mul_f16 v30, 0xbbdd2de8, v61
	v_pack_b32_f16 v22, v22, v45
	v_pack_b32_f16 v71, v46, v30
	ds_write_b32 v108, v22 offset:64
	v_add_co_u32 v22, null, v88, 17
	v_pk_add_f16 v50, v71, v50
	v_pk_fma_f16 v71, 0xbbdd2de8, v61, v142 op_sel:[0,0,1] op_sel_hi:[1,1,0] neg_lo:[0,0,1] neg_hi:[0,0,1]
	v_mul_u32_u24_e32 v94, 17, v22
	v_pk_add_f16 v104, v50, v35
	v_fma_f16 v35, v176, 0x2de8, -v46
	v_pk_add_f16 v101, v71, v47
	v_add_f16_e32 v103, v35, v73
	s_and_saveexec_b32 s2, vcc_lo
	s_cbranch_execz .LBB0_7
; %bb.6:
	buffer_load_dword v51, off, s[20:23], 0 offset:16 ; 4-byte Folded Reload
	v_pk_add_f16 v1, v1, v0
	v_mul_f16_e32 v35, 0x3b76, v160
	v_mul_f16_e32 v47, 0xbbdd, v26
	;; [unrolled: 1-line block ×4, first 2 shown]
	v_pk_add_f16 v1, v14, v1
	v_mul_f16_e32 v14, 0xbacd, v33
	v_add_f16_e32 v35, v206, v35
	v_add_f16_e32 v47, v165, v47
	;; [unrolled: 1-line block ×3, first 2 shown]
	v_pk_add_f16 v1, v15, v1
	v_sub_f16_e32 v14, v14, v130
	v_mul_f16_e32 v15, 0x3722, v34
	v_sub_f16_e32 v46, v46, v115
	v_mul_f16_e32 v50, 0xbbdd, v34
	v_pk_add_f16 v1, v12, v1
	v_mul_f16_e32 v12, 0x2de8, v139
	v_sub_f16_e32 v15, v15, v131
	v_mul_f16_e32 v71, 0xb8d2, v26
	v_sub_f16_e32 v50, v50, v105
	v_pk_add_f16 v1, v13, v1
	v_add_f16_e32 v12, v202, v12
	v_mul_f16_e32 v13, 0xb8d2, v144
	v_add_f16_e32 v71, v140, v71
	v_alignbit_b32 v20, v20, v20, 16
	v_pk_add_f16 v1, v10, v1
	v_mul_f16_e32 v10, 0xbacd, v28
	v_add_f16_e32 v13, v204, v13
	v_bfi_b32 v16, 0xffff, v16, v169
	v_alignbit_b32 v18, v18, v18, 16
	v_pk_add_f16 v1, v11, v1
	v_add_f16_e32 v10, v196, v10
	v_mul_f16_e32 v11, 0x3722, v26
	v_bfi_b32 v19, 0xffff, v19, v172
	v_alignbit_b32 v24, v24, v24, 16
	v_pk_add_f16 v18, v18, v169
	v_add_f16_sdwa v10, v10, v0 dst_sel:DWORD dst_unused:UNUSED_PAD src0_sel:DWORD src1_sel:WORD_1
	v_add_f16_e32 v11, v197, v11
	v_bfi_b32 v21, 0xffff, v21, v171
	v_alignbit_b32 v31, v31, v31, 16
	v_pk_add_f16 v1, v8, v1
	v_alignbit_b32 v8, v141, v141, 16
	v_add_f16_e32 v10, v11, v10
	v_mul_f16_e32 v11, 0x2de8, v48
	v_pk_add_f16 v31, v31, v171
	v_pk_add_f16 v1, v9, v1
	v_bfi_b32 v9, 0xffff, v23, v149
	v_add_f16_e32 v10, v12, v10
	v_sub_f16_e32 v11, v11, v132
	v_mul_f16_e32 v12, 0xb8d2, v28
	v_pk_add_f16 v1, v6, v1
	v_add_f16_e32 v10, v13, v10
	v_add_f16_e32 v13, v14, v0
	v_mul_f16_e32 v14, 0xbbdd, v164
	v_add_f16_e32 v12, v192, v12
	v_pk_add_f16 v1, v7, v1
	v_add_f16_e32 v10, v35, v10
	v_mul_f16_e32 v35, 0xb461, v34
	v_add_f16_e32 v14, v207, v14
	v_add_f16_e32 v13, v15, v13
	v_mul_f16_e32 v15, 0xb461, v26
	v_add_f16_sdwa v12, v12, v0 dst_sel:DWORD dst_unused:UNUSED_PAD src0_sel:DWORD src1_sel:WORD_1
	v_sub_f16_e32 v35, v35, v123
	v_add_f16_e32 v10, v14, v10
	v_mul_f16_e32 v14, 0x39e9, v170
	v_add_f16_e32 v11, v11, v13
	v_mul_f16_e32 v13, 0xb8d2, v49
	;; [unrolled: 2-line block ×3, first 2 shown]
	v_add_f16_e32 v14, v208, v14
	v_pk_add_f16 v7, v8, v146
	v_sub_f16_e32 v13, v13, v129
	v_add_f16_e32 v12, v15, v12
	v_mul_f16_e32 v15, 0x3b76, v139
	v_add_f16_e32 v10, v14, v10
	v_mul_f16_e32 v14, 0xb461, v176
	;; [unrolled: 2-line block ×3, first 2 shown]
	v_add_f16_e32 v15, v194, v15
	v_add_f16_e32 v25, v25, v26
	;; [unrolled: 1-line block ×3, first 2 shown]
	v_bfi_b32 v8, 0xffff, v134, v29
	v_sub_f16_e32 v13, v13, v128
	v_add_f16_e32 v12, v15, v12
	v_mul_f16_e32 v15, 0xbacd, v144
	v_add_f16_e32 v10, v14, v10
	v_mul_f16_e32 v14, 0xb8d2, v33
	;; [unrolled: 2-line block ×3, first 2 shown]
	v_add_f16_e32 v15, v199, v15
	v_pk_add_f16 v1, v4, v1
	v_sub_f16_e32 v14, v14, v124
	v_sub_f16_e32 v13, v13, v127
	v_add_f16_e32 v12, v15, v12
	v_mul_f16_e32 v15, 0x2de8, v160
	v_add_f16_e32 v14, v14, v0
	v_pk_add_f16 v1, v5, v1
	v_add_f16_e32 v11, v13, v11
	v_mul_f16_e32 v13, 0x39e9, v59
	v_add_f16_e32 v15, v201, v15
	v_add_f16_e32 v14, v35, v14
	v_mul_f16_e32 v35, 0x3b76, v48
	v_bfi_b32 v5, 0xffff, v135, v30
	v_sub_f16_e32 v13, v13, v126
	v_add_f16_e32 v12, v15, v12
	v_mul_f16_e32 v15, 0x39e9, v164
	v_sub_f16_e32 v35, v35, v122
	v_pk_add_f16 v1, v2, v1
	v_add_f16_e32 v11, v13, v11
	v_mul_f16_e32 v13, 0xb461, v61
	v_add_f16_e32 v15, v203, v15
	v_add_f16_e32 v14, v35, v14
	v_mul_f16_e32 v35, 0xbacd, v49
	v_pk_add_f16 v1, v3, v1
	v_sub_f16_e32 v13, v13, v125
	v_add_f16_e32 v12, v15, v12
	v_mul_f16_e32 v15, 0xbbdd, v170
	v_sub_f16_e32 v35, v35, v121
	v_pk_add_f16 v1, v32, v1
	v_add_f16_e32 v11, v13, v11
	v_mul_f16_e32 v13, 0xb461, v28
	v_add_f16_e32 v15, v205, v15
	v_add_f16_e32 v14, v35, v14
	v_mul_f16_e32 v35, 0x2de8, v52
	v_add_f16_e32 v13, v183, v13
	v_add_f16_e32 v12, v15, v12
	v_mul_f16_e32 v15, 0x3722, v176
	v_sub_f16_e32 v35, v35, v120
	v_add_f16_sdwa v13, v13, v0 dst_sel:DWORD dst_unused:UNUSED_PAD src0_sel:DWORD src1_sel:WORD_1
	v_add_f16_e32 v15, v150, v15
	v_add_f16_e32 v14, v35, v14
	v_mul_f16_e32 v35, 0x39e9, v57
	v_add_f16_e32 v13, v45, v13
	v_mul_f16_e32 v45, 0x39e9, v139
	;; [unrolled: 2-line block ×3, first 2 shown]
	v_sub_f16_e32 v35, v35, v119
	v_add_f16_e32 v45, v186, v45
	v_sub_f16_e32 v15, v15, v116
	v_add_f16_e32 v14, v35, v14
	v_mul_f16_e32 v35, 0xbbdd, v59
	v_add_f16_e32 v13, v45, v13
	v_mul_f16_e32 v45, 0x3722, v144
	v_add_f16_e32 v15, v15, v0
	v_sub_f16_e32 v35, v35, v118
	v_add_f16_e32 v45, v189, v45
	v_add_f16_e32 v15, v46, v15
	v_mul_f16_e32 v46, 0x39e9, v48
	v_add_f16_e32 v14, v35, v14
	v_mul_f16_e32 v35, 0x3722, v61
	;; [unrolled: 2-line block ×3, first 2 shown]
	v_sub_f16_e32 v46, v46, v114
	v_sub_f16_e32 v35, v35, v117
	v_add_f16_e32 v45, v193, v45
	v_add_f16_e32 v15, v46, v15
	v_mul_f16_e32 v46, 0x3722, v49
	v_add_f16_e32 v14, v35, v14
	v_mul_f16_e32 v35, 0x2de8, v28
	;; [unrolled: 2-line block ×3, first 2 shown]
	v_sub_f16_e32 v46, v46, v113
	v_add_f16_e32 v35, v166, v35
	v_add_f16_e32 v45, v195, v45
	;; [unrolled: 1-line block ×3, first 2 shown]
	v_mul_f16_e32 v46, 0xbbdd, v52
	v_add_f16_sdwa v35, v35, v0 dst_sel:DWORD dst_unused:UNUSED_PAD src0_sel:DWORD src1_sel:WORD_1
	v_add_f16_e32 v13, v45, v13
	v_mul_f16_e32 v45, 0x3b76, v170
	v_sub_f16_e32 v46, v46, v112
	v_add_f16_e32 v35, v47, v35
	v_mul_f16_e32 v47, 0xb461, v139
	v_add_f16_e32 v45, v200, v45
	v_add_f16_e32 v15, v46, v15
	v_mul_f16_e32 v46, 0x2de8, v57
	v_add_f16_e32 v47, v174, v47
	v_add_f16_e32 v13, v45, v13
	v_mul_f16_e32 v45, 0xb8d2, v176
	v_sub_f16_e32 v46, v46, v111
	v_add_f16_e32 v35, v47, v35
	v_mul_f16_e32 v47, 0x3b76, v144
	v_add_f16_e32 v45, v148, v45
	v_add_f16_e32 v15, v46, v15
	v_mul_f16_e32 v46, 0x3b76, v59
	v_add_f16_e32 v47, v180, v47
	v_add_f16_e32 v13, v45, v13
	v_mul_f16_e32 v45, 0x2de8, v33
	v_sub_f16_e32 v46, v46, v110
	v_add_f16_e32 v35, v47, v35
	v_mul_f16_e32 v47, 0x3722, v160
	v_sub_f16_e32 v45, v45, v107
	v_add_f16_e32 v15, v46, v15
	v_mul_f16_e32 v46, 0xb8d2, v61
	v_add_f16_e32 v47, v185, v47
	v_add_f16_e32 v45, v45, v0
	v_sub_f16_e32 v46, v46, v109
	v_add_f16_e32 v35, v47, v35
	v_mul_f16_e32 v47, 0xbacd, v164
	v_add_f16_e32 v45, v50, v45
	v_mul_f16_e32 v50, 0xb461, v48
	;; [unrolled: 2-line block ×4, first 2 shown]
	v_sub_f16_e32 v50, v50, v106
	v_add_f16_e32 v46, v145, v46
	v_add_f16_e32 v35, v47, v35
	v_mul_f16_e32 v47, 0xb8d2, v170
	v_add_f16_e32 v45, v50, v45
	v_mul_f16_e32 v50, 0x3b76, v49
	v_add_f16_sdwa v46, v46, v0 dst_sel:DWORD dst_unused:UNUSED_PAD src0_sel:DWORD src1_sel:WORD_1
	v_add_f16_e32 v27, v27, v28
	v_add_f16_e32 v47, v190, v47
	v_sub_f16_e32 v50, v50, v93
	v_add_f16_e32 v46, v71, v46
	v_add_f16_sdwa v27, v27, v0 dst_sel:DWORD dst_unused:UNUSED_PAD src0_sel:DWORD src1_sel:WORD_1
	v_add_f16_e32 v35, v47, v35
	v_mul_f16_e32 v47, 0x39e9, v176
	v_add_f16_e32 v45, v50, v45
	v_mul_f16_e32 v50, 0x3722, v52
	;; [unrolled: 2-line block ×3, first 2 shown]
	v_add_f16_e32 v47, v198, v47
	v_sub_f16_e32 v50, v50, v70
	v_mul_f16_e32 v70, 0xbbdd, v139
	v_add_f16_e32 v27, v138, v27
	v_add_f16_e32 v35, v47, v35
	v_mul_f16_e32 v47, 0x3722, v33
	v_add_f16_e32 v45, v50, v45
	v_mul_f16_e32 v50, 0xbacd, v57
	v_add_f16_e32 v70, v162, v70
	v_add_f16_e32 v25, v27, v25
	v_mul_f16_e32 v27, 0xbbdd, v144
	v_sub_f16_e32 v50, v50, v69
	v_mul_f16_e32 v69, 0xb461, v144
	v_add_f16_e32 v46, v70, v46
	v_add_f16_e32 v27, v143, v27
	;; [unrolled: 1-line block ×4, first 2 shown]
	v_mul_f16_e32 v50, 0xb8d2, v59
	v_add_f16_e32 v25, v27, v25
	v_mul_f16_e32 v27, 0xbacd, v160
	v_add_f16_e32 v46, v69, v46
	v_mul_f16_e32 v69, 0xb8d2, v34
	v_sub_f16_e32 v50, v50, v68
	v_mul_f16_e32 v68, 0x39e9, v160
	v_add_f16_e32 v27, v147, v27
	v_add_f16_e32 v45, v50, v45
	;; [unrolled: 1-line block ×3, first 2 shown]
	v_mul_f16_e32 v50, 0x39e9, v61
	v_add_f16_e32 v25, v27, v25
	v_mul_f16_e32 v27, 0xb461, v164
	v_add_f16_e32 v46, v68, v46
	v_sub_f16_e32 v50, v50, v67
	v_mul_f16_e32 v67, 0x3b76, v164
	v_mul_f16_e32 v68, 0xbbdd, v48
	v_add_f16_e32 v27, v163, v27
	v_add_f16_e32 v45, v50, v45
	;; [unrolled: 1-line block ×3, first 2 shown]
	v_sub_f16_e32 v56, v68, v56
	v_add_f16_e32 v25, v27, v25
	v_mul_f16_e32 v27, 0x3722, v170
	v_alignbit_b32 v50, v136, v136, 16
	v_add_f16_e32 v28, v67, v46
	v_mul_f16_e32 v46, 0x2de8, v170
	v_add_f16_e32 v27, v168, v27
	v_add_f16_e32 v46, v184, v46
	;; [unrolled: 1-line block ×4, first 2 shown]
	v_mul_f16_e32 v28, 0xbacd, v176
	v_add_f16_e32 v28, v188, v28
	v_add_f16_e32 v26, v28, v26
	s_waitcnt vmcnt(0)
	v_sub_f16_e32 v47, v47, v51
	buffer_load_dword v51, off, s[20:23], 0 offset:20 ; 4-byte Folded Reload
	v_add_f16_e32 v47, v47, v0
	s_waitcnt vmcnt(0)
	v_sub_f16_e32 v69, v69, v51
	buffer_load_dword v51, off, s[20:23], 0 offset:12 ; 4-byte Folded Reload
	v_add_f16_e32 v47, v69, v47
	v_add_f16_e32 v47, v56, v47
	v_mul_f16_e32 v56, 0xb461, v49
	v_sub_f16_e32 v56, v56, v60
	v_mul_f16_e32 v60, 0x2de8, v34
	v_mul_f16_e32 v34, 0x39e9, v34
	v_add_f16_e32 v46, v56, v47
	v_mul_f16_e32 v56, 0x39e9, v33
	v_mul_f16_e32 v47, 0x39e9, v52
	v_pk_add_f16 v16, v34, v16 neg_lo:[0,1] neg_hi:[0,1]
	v_mul_f16_e32 v34, 0xb8d2, v57
	v_sub_f16_e32 v47, v47, v63
	v_bfi_b32 v16, 0xffff, v16, v18
	v_mul_f16_e32 v18, 0xb461, v52
	v_add_f16_e32 v46, v47, v46
	v_mul_f16_e32 v47, 0x3b76, v57
	v_pk_add_f16 v6, v18, v9 neg_lo:[0,1] neg_hi:[0,1]
	v_sub_f16_e32 v47, v47, v64
	v_add_f16_e32 v46, v47, v46
	v_mul_f16_e32 v47, 0x2de8, v59
	v_sub_f16_e32 v47, v47, v65
	v_add_f16_e32 v46, v47, v46
	s_waitcnt vmcnt(0)
	v_sub_f16_e32 v56, v56, v51
	buffer_load_dword v51, off, s[20:23], 0 offset:8 ; 4-byte Folded Reload
	v_add_f16_e32 v56, v56, v0
	s_waitcnt vmcnt(0)
	v_sub_f16_e32 v60, v60, v51
	buffer_load_dword v51, off, s[20:23], 0 offset:24 ; 4-byte Folded Reload
	v_add_f16_e32 v56, v60, v56
	v_mul_f16_e32 v60, 0xb8d2, v48
	s_waitcnt vmcnt(0)
	v_sub_f16_e32 v60, v60, v51
	v_add_f16_e32 v47, v60, v56
	v_mul_f16_e32 v56, 0xbbdd, v49
	v_sub_f16_e32 v53, v56, v53
	v_mul_f16_e32 v56, 0xbacd, v61
	v_add_f16_e32 v47, v53, v47
	v_mul_f16_e32 v53, 0xbacd, v52
	v_sub_f16_e32 v56, v56, v66
	v_alignbit_b32 v52, v142, v142, 16
	v_sub_f16_e32 v53, v53, v58
	v_add_f16_e32 v28, v56, v46
	v_mul_f16_e32 v46, 0xb461, v57
	v_add_f16_e32 v27, v53, v47
	v_pk_mul_f16 v47, 0x3b76bbdd, v33
	v_mul_f16_e32 v33, 0x3b76, v33
	v_sub_f16_e32 v46, v46, v62
	v_bfi_b32 v17, 0xffff, v17, v47
	v_pk_add_f16 v20, v20, v47
	v_add_f16_e32 v27, v46, v27
	v_mul_f16_e32 v46, 0x3722, v48
	v_mul_f16_e32 v47, 0xbbdd, v61
	v_pk_add_f16 v17, v33, v17 neg_lo:[0,1] neg_hi:[0,1]
	v_mul_f16_e32 v33, 0x3b76, v176
	v_mul_f16_e32 v48, 0x3b76, v61
	v_pk_add_f16 v19, v46, v19 neg_lo:[0,1] neg_hi:[0,1]
	v_mul_f16_e32 v46, 0x3722, v59
	v_bfi_b32 v17, 0xffff, v17, v20
	v_pk_add_f16 v20, v24, v172
	v_mul_f16_e32 v24, 0x2de8, v49
	v_alignbit_b32 v49, v137, v137, 16
	v_pk_add_f16 v2, v47, v5 neg_lo:[0,1] neg_hi:[0,1]
	v_pk_add_f16 v0, v17, v0
	v_bfi_b32 v19, 0xffff, v19, v20
	v_pk_add_f16 v21, v24, v21 neg_lo:[0,1] neg_hi:[0,1]
	v_pk_add_f16 v9, v49, v149
	v_bfi_b32 v20, 0xffff, v133, v146
	v_pk_add_f16 v0, v16, v0
	v_mul_f16_e32 v24, 0xbacd, v59
	v_bfi_b32 v17, 0xffff, v21, v31
	v_bfi_b32 v6, 0xffff, v6, v9
	v_pk_add_f16 v16, v34, v20 neg_lo:[0,1] neg_hi:[0,1]
	v_pk_add_f16 v0, v19, v0
	v_add_f16_e32 v33, v175, v33
	v_bfi_b32 v9, 0xffff, v95, v101
	v_bfi_b32 v4, 0xffff, v16, v7
	v_pk_add_f16 v0, v17, v0
	v_pk_add_f16 v7, v24, v8 neg_lo:[0,1] neg_hi:[0,1]
	v_pk_add_f16 v8, v50, v29
	v_add_f16_e32 v3, v33, v25
	v_pk_add_f16 v0, v6, v0
	buffer_load_dword v6, off, s[20:23], 0 offset:28 ; 4-byte Folded Reload
	v_bfi_b32 v7, 0xffff, v7, v8
	v_pack_b32_f16 v8, v14, v12
	v_pk_add_f16 v0, v4, v0
	v_pk_add_f16 v4, v52, v30
	;; [unrolled: 1-line block ×3, first 2 shown]
	v_bfi_b32 v2, 0xffff, v2, v4
	v_pack_b32_f16 v7, v11, v10
	v_pk_add_f16 v0, v2, v0
	v_pack_b32_f16 v2, v28, v26
	s_waitcnt vmcnt(0)
	v_sub_f16_e32 v6, v46, v6
	v_add_f16_e32 v5, v6, v27
	v_sub_f16_e32 v6, v48, v55
	v_add_f16_e32 v4, v6, v5
	v_lshl_add_u32 v5, v94, 2, v245
	v_pack_b32_f16 v6, v45, v35
	v_pack_b32_f16 v3, v4, v3
	;; [unrolled: 1-line block ×3, first 2 shown]
	ds_write2_b32 v5, v1, v0 offset1:1
	ds_write2_b32 v5, v3, v2 offset0:2 offset1:3
	ds_write2_b32 v5, v6, v4 offset0:4 offset1:5
	ds_write2_b32 v5, v8, v7 offset0:6 offset1:7
	v_perm_b32 v0, v104, v101, 0x5040100
	v_alignbit_b32 v1, v103, v104, 16
	v_perm_b32 v2, v100, v44, 0x5040100
	v_perm_b32 v3, v102, v43, 0x5040100
	;; [unrolled: 1-line block ×6, first 2 shown]
	ds_write2_b32 v5, v0, v1 offset0:8 offset1:9
	ds_write2_b32 v5, v3, v2 offset0:10 offset1:11
	;; [unrolled: 1-line block ×4, first 2 shown]
	ds_write_b32 v5, v9 offset:64
.LBB0_7:
	s_or_b32 exec_lo, exec_lo, s2
	v_add_co_u32 v23, null, v88, 34
	v_add_co_u32 v45, null, v88, 51
	;; [unrolled: 1-line block ×3, first 2 shown]
	v_and_b32_e32 v4, 0xff, v23
	v_and_b32_e32 v5, 0xff, v45
	v_lshlrev_b32_e32 v24, 4, v88
	v_and_b32_e32 v6, 0xff, v46
	s_waitcnt lgkmcnt(0)
	v_mul_lo_u16 v4, 0xf1, v4
	v_mul_lo_u16 v5, 0xf1, v5
	s_barrier
	buffer_gl0_inv
	global_load_dwordx4 v[0:3], v24, s[0:1]
	v_lshrrev_b16 v4, 12, v4
	v_lshrrev_b16 v5, 12, v5
	v_add_nc_u32_e32 v69, 0x400, v72
	v_mul_lo_u16 v4, v4, 17
	v_mul_lo_u16 v5, v5, 17
	v_sub_nc_u16 v27, v23, v4
	v_mul_lo_u16 v4, 0xf1, v6
	v_sub_nc_u16 v26, v45, v5
	v_lshlrev_b16 v6, 2, v27
	v_lshrrev_b16 v4, 12, v4
	v_and_b32_e32 v5, 0xfc, v6
	v_mul_lo_u16 v4, v4, 17
	v_lshlrev_b16 v6, 2, v26
	v_lshlrev_b32_e32 v5, 2, v5
	v_sub_nc_u16 v25, v46, v4
	v_and_b32_e32 v4, 0xfc, v6
	global_load_dwordx4 v[12:15], v5, s[0:1]
	v_lshlrev_b32_e32 v4, 2, v4
	global_load_dwordx4 v[8:11], v4, s[0:1]
	v_lshlrev_b16 v5, 2, v25
	v_and_b32_e32 v5, 0xfc, v5
	v_lshlrev_b32_e32 v4, 2, v5
	global_load_dwordx4 v[4:7], v4, s[0:1]
	ds_read2_b32 v[20:21], v72 offset1:17
	ds_read2_b32 v[16:17], v72 offset0:68 offset1:85
	ds_read2_b32 v[33:34], v72 offset0:170 offset1:187
	ds_read2_b32 v[47:48], v72 offset0:238 offset1:255
	ds_read2_b32 v[49:50], v72 offset0:102 offset1:119
	ds_read2_b32 v[18:19], v72 offset0:34 offset1:51
	ds_read2_b32 v[51:52], v72 offset0:204 offset1:221
	ds_read2_b32 v[55:56], v72 offset0:136 offset1:153
	ds_read_b32 v35, v72 offset:1632
	ds_read2_b32 v[57:58], v69 offset0:84 offset1:101
	ds_read2_b32 v[59:60], v69 offset0:16 offset1:33
	;; [unrolled: 1-line block ×4, first 2 shown]
	s_waitcnt vmcnt(0) lgkmcnt(0)
	s_barrier
	buffer_gl0_inv
	v_lshrrev_b32_e32 v32, 16, v20
	v_lshrrev_b32_e32 v53, 16, v17
	;; [unrolled: 1-line block ×25, first 2 shown]
	v_mul_f16_sdwa v116, v53, v0 dst_sel:DWORD dst_unused:UNUSED_PAD src0_sel:DWORD src1_sel:WORD_1
	v_mul_f16_sdwa v118, v65, v1 dst_sel:DWORD dst_unused:UNUSED_PAD src0_sel:DWORD src1_sel:WORD_1
	;; [unrolled: 1-line block ×13, first 2 shown]
	v_fma_f16 v17, v17, v0, -v116
	v_fma_f16 v33, v33, v1, -v118
	;; [unrolled: 1-line block ×3, first 2 shown]
	v_mul_f16_sdwa v124, v67, v0 dst_sel:DWORD dst_unused:UNUSED_PAD src0_sel:DWORD src1_sel:WORD_1
	v_mul_f16_sdwa v126, v68, v1 dst_sel:DWORD dst_unused:UNUSED_PAD src0_sel:DWORD src1_sel:WORD_1
	;; [unrolled: 1-line block ×3, first 2 shown]
	v_fmac_f16_e32 v117, v53, v0
	v_fmac_f16_e32 v119, v65, v1
	;; [unrolled: 1-line block ×3, first 2 shown]
	v_fma_f16 v53, v57, v3, -v122
	v_fmac_f16_e32 v123, v107, v3
	v_fmac_f16_e32 v125, v67, v0
	v_fmac_f16_e32 v127, v68, v1
	v_fma_f16 v57, v59, v2, -v128
	v_fmac_f16_e32 v129, v109, v2
	v_fmac_f16_e32 v131, v110, v3
	v_add_f16_e32 v59, v20, v17
	v_add_f16_e32 v65, v33, v48
	v_fma_f16 v49, v49, v0, -v124
	v_fma_f16 v34, v34, v1, -v126
	;; [unrolled: 1-line block ×3, first 2 shown]
	v_sub_f16_e32 v66, v117, v123
	v_sub_f16_e32 v68, v17, v33
	v_sub_f16_e32 v107, v53, v48
	v_add_f16_e32 v109, v17, v53
	v_sub_f16_e32 v110, v33, v17
	v_sub_f16_e32 v116, v48, v53
	v_add_f16_e32 v118, v32, v117
	v_add_f16_e32 v120, v119, v121
	v_sub_f16_e32 v122, v33, v48
	v_sub_f16_e32 v124, v117, v119
	;; [unrolled: 1-line block ×3, first 2 shown]
	v_add_f16_e32 v142, v127, v129
	v_add_f16_e32 v146, v125, v131
	;; [unrolled: 1-line block ×3, first 2 shown]
	v_fma_f16 v59, -0.5, v65, v20
	v_sub_f16_e32 v67, v119, v121
	v_sub_f16_e32 v17, v17, v53
	v_add_f16_e32 v128, v117, v123
	v_sub_f16_e32 v117, v119, v117
	v_sub_f16_e32 v130, v121, v123
	v_add_f16_e32 v132, v21, v49
	v_add_f16_e32 v133, v34, v57
	;; [unrolled: 1-line block ×4, first 2 shown]
	v_sub_f16_e32 v143, v34, v57
	v_add_f16_e32 v65, v68, v107
	v_fma_f16 v20, -0.5, v109, v20
	v_add_f16_e32 v68, v110, v116
	v_add_f16_e32 v107, v118, v119
	v_fma_f16 v109, -0.5, v120, v32
	v_add_f16_e32 v110, v124, v126
	v_fma_f16 v124, -0.5, v142, v31
	v_fmac_f16_e32 v31, -0.5, v146
	v_add_f16_e32 v33, v33, v48
	v_fmamk_f16 v48, v66, 0x3b9c, v59
	v_fmac_f16_e32 v59, 0xbb9c, v66
	v_sub_f16_e32 v134, v125, v131
	v_sub_f16_e32 v135, v127, v129
	;; [unrolled: 1-line block ×5, first 2 shown]
	v_fmac_f16_e32 v32, -0.5, v128
	v_add_f16_e32 v116, v117, v130
	v_add_f16_e32 v34, v132, v34
	v_fma_f16 v117, -0.5, v133, v21
	v_fmac_f16_e32 v21, -0.5, v138
	v_add_f16_e32 v120, v141, v127
	v_add_f16_e32 v107, v107, v121
	v_fmamk_f16 v121, v17, 0xbb9c, v109
	v_fmac_f16_e32 v109, 0x3b9c, v17
	v_fmamk_f16 v132, v143, 0x3b9c, v31
	v_fmac_f16_e32 v31, 0xbb9c, v143
	v_fmac_f16_e32 v48, 0x38b4, v67
	;; [unrolled: 1-line block ×3, first 2 shown]
	v_sub_f16_e32 v137, v58, v57
	v_sub_f16_e32 v140, v57, v58
	;; [unrolled: 1-line block ×6, first 2 shown]
	v_fmamk_f16 v127, v67, 0xbb9c, v20
	v_fmac_f16_e32 v20, 0x3b9c, v67
	v_fmamk_f16 v128, v122, 0x3b9c, v32
	v_fmac_f16_e32 v32, 0xbb9c, v122
	v_add_f16_e32 v34, v34, v57
	v_fmamk_f16 v57, v134, 0x3b9c, v117
	v_fmac_f16_e32 v117, 0xbb9c, v134
	v_fmamk_f16 v130, v135, 0xbb9c, v21
	v_fmac_f16_e32 v21, 0x3b9c, v135
	v_add_f16_e32 v120, v120, v129
	v_fmamk_f16 v129, v49, 0xbb9c, v124
	v_fmac_f16_e32 v124, 0x3b9c, v49
	v_fmac_f16_e32 v121, 0xb8b4, v122
	v_fmac_f16_e32 v109, 0x38b4, v122
	v_fmac_f16_e32 v132, 0xb8b4, v49
	v_fmac_f16_e32 v31, 0x38b4, v49
	v_fmac_f16_e32 v48, 0x34f2, v65
	v_fmac_f16_e32 v59, 0x34f2, v65
	v_mul_f16_sdwa v49, v70, v12 dst_sel:DWORD dst_unused:UNUSED_PAD src0_sel:DWORD src1_sel:WORD_1
	v_mul_f16_sdwa v65, v71, v13 dst_sel:DWORD dst_unused:UNUSED_PAD src0_sel:DWORD src1_sel:WORD_1
	;; [unrolled: 1-line block ×3, first 2 shown]
	v_add_f16_e32 v118, v136, v137
	v_add_f16_e32 v119, v139, v140
	;; [unrolled: 1-line block ×4, first 2 shown]
	v_fmac_f16_e32 v127, 0x38b4, v66
	v_fmac_f16_e32 v20, 0xb8b4, v66
	v_add_f16_e32 v53, v107, v123
	v_fmac_f16_e32 v128, 0xb8b4, v17
	v_fmac_f16_e32 v32, 0x38b4, v17
	v_add_f16_e32 v17, v34, v58
	v_fmac_f16_e32 v57, 0x38b4, v135
	v_fmac_f16_e32 v117, 0xb8b4, v135
	;; [unrolled: 1-line block ×8, first 2 shown]
	v_mul_f16_sdwa v58, v50, v12 dst_sel:DWORD dst_unused:UNUSED_PAD src0_sel:DWORD src1_sel:WORD_1
	v_mul_f16_sdwa v66, v51, v13 dst_sel:DWORD dst_unused:UNUSED_PAD src0_sel:DWORD src1_sel:WORD_1
	;; [unrolled: 1-line block ×6, first 2 shown]
	v_fma_f16 v49, v50, v12, -v49
	v_fma_f16 v50, v51, v13, -v65
	;; [unrolled: 1-line block ×3, first 2 shown]
	v_add_f16_e32 v125, v125, v147
	v_add_f16_e32 v34, v120, v131
	v_fmac_f16_e32 v127, 0x34f2, v68
	v_fmac_f16_e32 v20, 0x34f2, v68
	;; [unrolled: 1-line block ×10, first 2 shown]
	v_mul_f16_sdwa v68, v60, v14 dst_sel:DWORD dst_unused:UNUSED_PAD src0_sel:DWORD src1_sel:WORD_1
	v_mul_f16_sdwa v116, v73, v8 dst_sel:DWORD dst_unused:UNUSED_PAD src0_sel:DWORD src1_sel:WORD_1
	;; [unrolled: 1-line block ×11, first 2 shown]
	v_fmac_f16_e32 v58, v70, v12
	v_fma_f16 v60, v61, v15, -v107
	v_fmac_f16_e32 v110, v112, v15
	v_fma_f16 v61, v63, v10, -v122
	v_fma_f16 v63, v64, v6, -v136
	v_add_f16_e32 v64, v18, v49
	v_add_f16_e32 v65, v50, v51
	v_fmac_f16_e32 v132, 0x34f2, v125
	v_fmac_f16_e32 v31, 0x34f2, v125
	v_mul_f16_sdwa v125, v114, v11 dst_sel:DWORD dst_unused:UNUSED_PAD src0_sel:DWORD src1_sel:WORD_1
	v_mul_f16_sdwa v134, v105, v5 dst_sel:DWORD dst_unused:UNUSED_PAD src0_sel:DWORD src1_sel:WORD_1
	;; [unrolled: 1-line block ×4, first 2 shown]
	v_fmac_f16_e32 v66, v71, v13
	v_fmac_f16_e32 v68, v111, v14
	v_fma_f16 v55, v55, v8, -v116
	v_fmac_f16_e32 v118, v73, v8
	v_fma_f16 v52, v52, v9, -v119
	v_fmac_f16_e32 v120, v92, v9
	v_fmac_f16_e32 v123, v113, v10
	;; [unrolled: 1-line block ×3, first 2 shown]
	v_fma_f16 v56, v56, v4, -v131
	v_fmac_f16_e32 v133, v93, v4
	v_fmac_f16_e32 v139, v106, v7
	v_sub_f16_e32 v67, v58, v110
	v_sub_f16_e32 v71, v49, v50
	v_add_f16_e32 v92, v49, v60
	v_sub_f16_e32 v93, v50, v49
	v_add_f16_e32 v106, v30, v58
	;; [unrolled: 2-line block ×3, first 2 shown]
	v_fma_f16 v64, -0.5, v65, v18
	v_fma_f16 v62, v62, v11, -v125
	v_fma_f16 v47, v47, v5, -v134
	v_fmac_f16_e32 v135, v105, v5
	v_fmac_f16_e32 v137, v115, v6
	v_sub_f16_e32 v70, v66, v68
	v_sub_f16_e32 v73, v60, v51
	;; [unrolled: 1-line block ×3, first 2 shown]
	v_add_f16_e32 v107, v66, v68
	v_sub_f16_e32 v112, v58, v66
	v_sub_f16_e32 v113, v110, v68
	v_add_f16_e32 v114, v58, v110
	v_sub_f16_e32 v58, v66, v58
	v_sub_f16_e32 v115, v68, v110
	v_add_f16_e32 v116, v19, v55
	v_add_f16_e32 v119, v52, v61
	;; [unrolled: 1-line block ×5, first 2 shown]
	v_fma_f16 v18, -0.5, v92, v18
	v_add_f16_e32 v66, v106, v66
	v_add_f16_e32 v50, v50, v51
	v_fmamk_f16 v51, v67, 0x3b9c, v64
	v_fmac_f16_e32 v64, 0xbb9c, v67
	v_fma_f16 v35, v35, v7, -v138
	v_sub_f16_e32 v131, v55, v52
	v_sub_f16_e32 v134, v62, v61
	;; [unrolled: 1-line block ×3, first 2 shown]
	v_add_f16_e32 v141, v29, v118
	v_sub_f16_e32 v143, v52, v61
	v_add_f16_e32 v65, v71, v73
	v_add_f16_e32 v71, v93, v105
	v_fma_f16 v73, -0.5, v107, v30
	v_add_f16_e32 v92, v112, v113
	v_fmac_f16_e32 v30, -0.5, v114
	v_add_f16_e32 v58, v58, v115
	v_add_f16_e32 v52, v116, v52
	v_fma_f16 v93, -0.5, v119, v19
	v_fma_f16 v112, -0.5, v142, v29
	v_fmac_f16_e32 v29, -0.5, v146
	v_add_f16_e32 v115, v148, v47
	v_fmamk_f16 v119, v70, 0xbb9c, v18
	v_fmac_f16_e32 v18, 0x3b9c, v70
	v_add_f16_e32 v66, v66, v68
	v_fmac_f16_e32 v51, 0x38b4, v70
	v_fmac_f16_e32 v64, 0xb8b4, v70
	v_sub_f16_e32 v49, v49, v60
	v_sub_f16_e32 v122, v118, v126
	;; [unrolled: 1-line block ×3, first 2 shown]
	v_add_f16_e32 v136, v55, v62
	v_sub_f16_e32 v55, v55, v62
	v_sub_f16_e32 v144, v118, v120
	;; [unrolled: 1-line block ×3, first 2 shown]
	v_add_f16_e32 v105, v131, v134
	v_add_f16_e32 v107, v141, v120
	v_fmamk_f16 v120, v111, 0x3b9c, v30
	v_fmac_f16_e32 v30, 0xbb9c, v111
	v_add_f16_e32 v52, v52, v61
	v_fmamk_f16 v134, v143, 0x3b9c, v29
	v_fmac_f16_e32 v29, 0xbb9c, v143
	v_add_f16_e32 v115, v115, v63
	v_add_f16_e32 v50, v50, v60
	v_fmac_f16_e32 v119, 0x38b4, v67
	v_fmac_f16_e32 v18, 0xb8b4, v67
	v_add_f16_e32 v60, v66, v110
	v_fmac_f16_e32 v51, 0x34f2, v65
	v_fmac_f16_e32 v64, 0x34f2, v65
	v_sub_f16_e32 v65, v47, v56
	v_sub_f16_e32 v66, v63, v35
	v_add_f16_e32 v67, v28, v133
	v_sub_f16_e32 v140, v61, v62
	v_sub_f16_e32 v145, v126, v123
	;; [unrolled: 1-line block ×5, first 2 shown]
	v_add_f16_e32 v154, v56, v35
	v_fmamk_f16 v68, v49, 0xbb9c, v73
	v_fmac_f16_e32 v73, 0x3b9c, v49
	v_add_f16_e32 v107, v107, v123
	v_fmamk_f16 v123, v55, 0xbb9c, v112
	v_fmac_f16_e32 v112, 0x3b9c, v55
	v_fmac_f16_e32 v120, 0xb8b4, v49
	;; [unrolled: 1-line block ×3, first 2 shown]
	v_add_f16_e32 v49, v52, v62
	v_fmac_f16_e32 v134, 0xb8b4, v55
	v_fmac_f16_e32 v29, 0x38b4, v55
	v_add_f16_e32 v55, v115, v35
	v_add_f16_e32 v62, v135, v137
	v_sub_f16_e32 v35, v56, v35
	v_add_f16_e32 v56, v65, v66
	v_add_f16_e32 v65, v67, v135
	;; [unrolled: 1-line block ×4, first 2 shown]
	v_fma_f16 v62, -0.5, v62, v28
	v_sub_f16_e32 v47, v47, v63
	v_sub_f16_e32 v151, v135, v137
	v_fmac_f16_e32 v28, -0.5, v67
	v_fmac_f16_e32 v19, -0.5, v136
	v_fma_f16 v116, -0.5, v149, v16
	v_fmac_f16_e32 v16, -0.5, v154
	v_fmamk_f16 v66, v35, 0xbb9c, v62
	v_fmamk_f16 v67, v47, 0x3b9c, v28
	v_fmac_f16_e32 v28, 0xbb9c, v47
	v_fmac_f16_e32 v62, 0x3b9c, v35
	v_pack_b32_f16 v33, v33, v53
	v_sub_f16_e32 v150, v133, v139
	v_fmac_f16_e32 v67, 0xb8b4, v35
	v_fmac_f16_e32 v28, 0x38b4, v35
	v_pack_b32_f16 v35, v48, v121
	v_fmamk_f16 v131, v125, 0xbb9c, v19
	v_fmac_f16_e32 v19, 0x3b9c, v125
	v_fmac_f16_e32 v68, 0xb8b4, v111
	;; [unrolled: 1-line block ×4, first 2 shown]
	v_fmamk_f16 v58, v151, 0xbb9c, v16
	v_fmac_f16_e32 v16, 0x3b9c, v151
	ds_write2_b32 v72, v33, v35 offset1:17
	v_pack_b32_f16 v33, v127, v128
	v_pack_b32_f16 v20, v20, v32
	v_fmamk_f16 v61, v122, 0x3b9c, v93
	v_fmac_f16_e32 v93, 0xbb9c, v122
	v_pack_b32_f16 v32, v59, v109
	v_pack_b32_f16 v17, v17, v34
	v_pack_b32_f16 v34, v57, v129
	v_pack_b32_f16 v35, v130, v132
	v_pack_b32_f16 v21, v21, v31
	v_pack_b32_f16 v31, v117, v124
	v_add_f16_e32 v106, v138, v140
	v_fmac_f16_e32 v131, 0x38b4, v122
	v_fmac_f16_e32 v19, 0xb8b4, v122
	;; [unrolled: 1-line block ×5, first 2 shown]
	ds_write2_b32 v72, v33, v20 offset0:34 offset1:51
	v_and_b32_e32 v20, 0xff, v27
	v_fmac_f16_e32 v61, 0x38b4, v125
	v_fmac_f16_e32 v93, 0xb8b4, v125
	;; [unrolled: 1-line block ×4, first 2 shown]
	ds_write2_b32 v72, v32, v17 offset0:68 offset1:85
	ds_write2_b32 v72, v34, v35 offset0:102 offset1:119
	;; [unrolled: 1-line block ×3, first 2 shown]
	v_and_b32_e32 v17, 0xff, v26
	v_fmac_f16_e32 v73, 0x38b4, v111
	v_add_f16_e32 v113, v144, v145
	v_fmac_f16_e32 v123, 0xb8b4, v143
	v_fmamk_f16 v136, v150, 0x3b9c, v116
	v_fmac_f16_e32 v131, 0x34f2, v106
	v_fmac_f16_e32 v19, 0x34f2, v106
	;; [unrolled: 1-line block ×4, first 2 shown]
	v_add_f16_e32 v56, v65, v137
	v_sub_f16_e32 v63, v133, v135
	v_sub_f16_e32 v65, v139, v137
	v_lshl_add_u32 v106, v20, 2, v245
	v_pack_b32_f16 v20, v50, v60
	v_pack_b32_f16 v21, v51, v68
	v_fmac_f16_e32 v61, 0x34f2, v105
	v_fmac_f16_e32 v93, 0x34f2, v105
	v_sub_f16_e32 v70, v135, v133
	v_sub_f16_e32 v71, v137, v139
	v_pack_b32_f16 v26, v119, v120
	v_lshl_add_u32 v105, v17, 2, v245
	v_pack_b32_f16 v17, v18, v30
	v_fmac_f16_e32 v116, 0xbb9c, v150
	v_add_f16_e32 v114, v118, v147
	v_fmac_f16_e32 v73, 0x34f2, v92
	v_add_f16_e32 v52, v107, v126
	v_fmac_f16_e32 v112, 0x38b4, v143
	v_fmac_f16_e32 v123, 0x34f2, v113
	v_add_f16_e32 v118, v152, v153
	v_fmac_f16_e32 v136, 0x38b4, v151
	v_fmac_f16_e32 v66, 0xb8b4, v47
	v_add_f16_e32 v63, v63, v65
	ds_write2_b32 v106, v20, v21 offset0:170 offset1:187
	ds_write2_b32 v106, v26, v17 offset0:204 offset1:221
	v_and_b32_e32 v17, 0xff, v25
	v_fmac_f16_e32 v62, 0x38b4, v47
	v_add_f16_e32 v47, v70, v71
	v_fmac_f16_e32 v116, 0xb8b4, v151
	v_fmac_f16_e32 v134, 0x34f2, v114
	;; [unrolled: 1-line block ×3, first 2 shown]
	v_pack_b32_f16 v18, v64, v73
	v_fmac_f16_e32 v112, 0x34f2, v113
	v_pack_b32_f16 v27, v49, v52
	v_pack_b32_f16 v30, v61, v123
	v_add_nc_u32_e32 v31, 0x200, v105
	v_fmac_f16_e32 v136, 0x34f2, v118
	v_add_f16_e32 v56, v56, v139
	v_fmac_f16_e32 v66, 0x34f2, v63
	v_lshl_add_u32 v107, v17, 2, v245
	v_fmac_f16_e32 v67, 0x34f2, v47
	v_fmac_f16_e32 v28, 0x34f2, v47
	;; [unrolled: 1-line block ×4, first 2 shown]
	ds_write_b32 v106, v18 offset:952
	ds_write2_b32 v31, v27, v30 offset0:127 offset1:144
	v_pack_b32_f16 v18, v131, v134
	v_pack_b32_f16 v19, v19, v29
	v_add_nc_u32_e32 v17, 0x400, v105
	v_pack_b32_f16 v20, v93, v112
	v_pack_b32_f16 v21, v55, v56
	;; [unrolled: 1-line block ×3, first 2 shown]
	v_add_nc_u32_e32 v26, 0x400, v107
	v_pack_b32_f16 v27, v58, v67
	v_pack_b32_f16 v16, v16, v28
	;; [unrolled: 1-line block ×3, first 2 shown]
	ds_write2_b32 v17, v18, v19 offset0:33 offset1:50
	ds_write_b32 v105, v20 offset:1292
	ds_write2_b32 v26, v21, v25 offset0:84 offset1:101
	ds_write2_b32 v26, v27, v16 offset0:118 offset1:135
	ds_write_b32 v107, v28 offset:1632
	v_lshlrev_b32_e32 v16, 4, v22
	s_waitcnt lgkmcnt(0)
	s_barrier
	buffer_gl0_inv
	s_clause 0x1
	global_load_dwordx4 v[28:31], v24, s[0:1] offset:272
	global_load_dwordx4 v[32:35], v16, s[0:1] offset:272
	v_lshlrev_b32_e32 v16, 4, v23
	global_load_dwordx4 v[24:27], v16, s[0:1] offset:272
	v_lshlrev_b32_e32 v16, 4, v45
	global_load_dwordx4 v[20:23], v16, s[0:1] offset:272
	v_lshlrev_b32_e32 v16, 4, v46
	global_load_dwordx4 v[16:19], v16, s[0:1] offset:272
	ds_read2_b32 v[52:53], v72 offset1:17
	ds_read2_b32 v[47:48], v72 offset0:68 offset1:85
	ds_read2_b32 v[49:50], v72 offset0:170 offset1:187
	;; [unrolled: 1-line block ×11, first 2 shown]
	ds_read_b32 v51, v72 offset:1632
	s_add_u32 s0, s16, 0x6a4
	s_addc_u32 s1, s17, 0
	s_waitcnt lgkmcnt(12)
	v_lshrrev_b32_e32 v57, 16, v52
	s_waitcnt lgkmcnt(11)
	v_lshrrev_b32_e32 v68, 16, v48
	;; [unrolled: 2-line block ×7, first 2 shown]
	v_lshrrev_b32_e32 v122, 16, v65
	v_lshrrev_b32_e32 v93, 16, v50
	s_waitcnt lgkmcnt(3)
	v_lshrrev_b32_e32 v126, 16, v115
	s_waitcnt lgkmcnt(1)
	v_lshrrev_b32_e32 v129, 16, v119
	v_lshrrev_b32_e32 v133, 16, v120
	s_waitcnt lgkmcnt(0)
	v_lshrrev_b32_e32 v134, 16, v51
	v_lshrrev_b32_e32 v123, 16, v67
	v_lshrrev_b32_e32 v124, 16, v113
	v_lshrrev_b32_e32 v125, 16, v110
	v_lshrrev_b32_e32 v128, 16, v114
	v_lshrrev_b32_e32 v127, 16, v117
	v_lshrrev_b32_e32 v131, 16, v118
	v_lshrrev_b32_e32 v132, 16, v62
	v_lshrrev_b32_e32 v130, 16, v116
	v_lshrrev_b32_e32 v56, 16, v53
	v_lshrrev_b32_e32 v55, 16, v45
	v_lshrrev_b32_e32 v112, 16, v46
	v_lshrrev_b32_e32 v111, 16, v47
	s_waitcnt vmcnt(4)
	v_mul_f16_sdwa v135, v68, v28 dst_sel:DWORD dst_unused:UNUSED_PAD src0_sel:DWORD src1_sel:WORD_1
	v_mul_f16_sdwa v136, v48, v28 dst_sel:DWORD dst_unused:UNUSED_PAD src0_sel:DWORD src1_sel:WORD_1
	;; [unrolled: 1-line block ×8, first 2 shown]
	s_waitcnt vmcnt(3)
	v_mul_f16_sdwa v143, v92, v32 dst_sel:DWORD dst_unused:UNUSED_PAD src0_sel:DWORD src1_sel:WORD_1
	v_mul_f16_sdwa v147, v121, v34 dst_sel:DWORD dst_unused:UNUSED_PAD src0_sel:DWORD src1_sel:WORD_1
	;; [unrolled: 1-line block ×3, first 2 shown]
	s_waitcnt vmcnt(2)
	v_mul_f16_sdwa v156, v110, v26 dst_sel:DWORD dst_unused:UNUSED_PAD src0_sel:DWORD src1_sel:WORD_1
	v_mul_f16_sdwa v157, v126, v27 dst_sel:DWORD dst_unused:UNUSED_PAD src0_sel:DWORD src1_sel:WORD_1
	s_waitcnt vmcnt(1)
	v_mul_f16_sdwa v163, v129, v22 dst_sel:DWORD dst_unused:UNUSED_PAD src0_sel:DWORD src1_sel:WORD_1
	v_fma_f16 v48, v48, v28, -v135
	v_fmac_f16_e32 v136, v68, v28
	v_fma_f16 v49, v49, v29, -v137
	v_fmac_f16_e32 v138, v70, v29
	v_fma_f16 v68, v63, v30, -v139
	s_waitcnt vmcnt(0)
	v_mul_f16_sdwa v169, v133, v18 dst_sel:DWORD dst_unused:UNUSED_PAD src0_sel:DWORD src1_sel:WORD_1
	v_mul_f16_sdwa v170, v134, v19 dst_sel:DWORD dst_unused:UNUSED_PAD src0_sel:DWORD src1_sel:WORD_1
	v_fmac_f16_e32 v140, v71, v30
	v_fma_f16 v70, v64, v31, -v141
	v_mul_f16_sdwa v144, v66, v32 dst_sel:DWORD dst_unused:UNUSED_PAD src0_sel:DWORD src1_sel:WORD_1
	v_mul_f16_sdwa v145, v93, v33 dst_sel:DWORD dst_unused:UNUSED_PAD src0_sel:DWORD src1_sel:WORD_1
	;; [unrolled: 1-line block ×15, first 2 shown]
	v_fmac_f16_e32 v142, v73, v31
	v_fma_f16 v66, v66, v32, -v143
	v_fma_f16 v71, v109, v34, -v147
	;; [unrolled: 1-line block ×3, first 2 shown]
	v_fmac_f16_e32 v156, v125, v26
	v_fma_f16 v109, v115, v27, -v157
	v_fma_f16 v115, v119, v22, -v163
	v_fma_f16 v63, v120, v18, -v169
	v_fma_f16 v65, v51, v19, -v170
	v_add_f16_e32 v51, v52, v48
	v_sub_f16_e32 v119, v48, v49
	v_sub_f16_e32 v120, v70, v68
	v_add_f16_e32 v125, v138, v140
	v_mul_f16_sdwa v152, v67, v24 dst_sel:DWORD dst_unused:UNUSED_PAD src0_sel:DWORD src1_sel:WORD_1
	v_mul_f16_sdwa v159, v127, v20 dst_sel:DWORD dst_unused:UNUSED_PAD src0_sel:DWORD src1_sel:WORD_1
	;; [unrolled: 1-line block ×7, first 2 shown]
	v_fmac_f16_e32 v144, v92, v32
	v_fma_f16 v50, v50, v33, -v145
	v_fmac_f16_e32 v146, v93, v33
	v_fmac_f16_e32 v148, v121, v34
	;; [unrolled: 1-line block ×3, first 2 shown]
	v_fma_f16 v67, v67, v24, -v151
	v_fma_f16 v92, v113, v25, -v153
	v_fmac_f16_e32 v154, v124, v25
	v_fma_f16 v93, v110, v26, -v155
	v_fmac_f16_e32 v158, v126, v27
	;; [unrolled: 2-line block ×3, first 2 shown]
	v_fmac_f16_e32 v59, v132, v17
	v_add_f16_e32 v114, v49, v68
	v_add_f16_e32 v121, v48, v70
	v_sub_f16_e32 v122, v49, v48
	v_add_f16_e32 v124, v57, v136
	v_sub_f16_e32 v48, v48, v70
	v_sub_f16_e32 v126, v49, v68
	v_add_f16_e32 v129, v136, v142
	v_add_f16_e32 v132, v53, v66
	;; [unrolled: 1-line block ×4, first 2 shown]
	v_fma_f16 v120, -0.5, v125, v57
	v_mul_f16_sdwa v165, v130, v23 dst_sel:DWORD dst_unused:UNUSED_PAD src0_sel:DWORD src1_sel:WORD_1
	v_mul_f16_sdwa v58, v118, v16 dst_sel:DWORD dst_unused:UNUSED_PAD src0_sel:DWORD src1_sel:WORD_1
	v_fmac_f16_e32 v152, v123, v24
	v_fma_f16 v110, v117, v20, -v159
	v_fmac_f16_e32 v160, v127, v20
	v_fmac_f16_e32 v162, v128, v21
	v_fmac_f16_e32 v166, v130, v23
	v_fma_f16 v64, v118, v16, -v167
	v_fmac_f16_e32 v60, v133, v18
	v_sub_f16_e32 v117, v136, v142
	v_sub_f16_e32 v118, v138, v140
	;; [unrolled: 1-line block ×6, first 2 shown]
	v_add_f16_e32 v133, v50, v71
	v_sub_f16_e32 v136, v66, v50
	v_sub_f16_e32 v137, v73, v71
	v_add_f16_e32 v139, v66, v73
	v_sub_f16_e32 v141, v50, v66
	v_sub_f16_e32 v149, v50, v71
	v_add_f16_e32 v161, v92, v93
	v_add_f16_e32 v169, v67, v109
	v_fma_f16 v174, -0.5, v114, v52
	v_fma_f16 v119, -0.5, v121, v52
	v_add_f16_e32 v114, v124, v138
	v_fmac_f16_e32 v57, -0.5, v129
	v_add_f16_e32 v50, v132, v50
	v_fmamk_f16 v138, v48, 0xbb9c, v120
	v_fmac_f16_e32 v120, 0x3b9c, v48
	v_fma_f16 v116, v116, v23, -v165
	v_fmac_f16_e32 v58, v131, v16
	v_fmac_f16_e32 v61, v134, v19
	v_sub_f16_e32 v131, v140, v142
	v_sub_f16_e32 v134, v144, v150
	v_add_f16_e32 v145, v56, v144
	v_add_f16_e32 v147, v146, v148
	v_sub_f16_e32 v151, v144, v146
	v_add_f16_e32 v155, v144, v150
	v_sub_f16_e32 v144, v146, v144
	v_sub_f16_e32 v157, v148, v150
	v_add_f16_e32 v159, v45, v67
	v_sub_f16_e32 v165, v154, v156
	v_add_f16_e32 v172, v55, v152
	v_add_f16_e32 v173, v154, v156
	;; [unrolled: 1-line block ×4, first 2 shown]
	v_fma_f16 v123, -0.5, v133, v53
	v_add_f16_e32 v124, v136, v137
	v_fmac_f16_e32 v53, -0.5, v139
	v_fma_f16 v132, -0.5, v161, v45
	v_fma_f16 v136, -0.5, v169, v45
	v_add_f16_e32 v45, v49, v68
	v_fmamk_f16 v68, v117, 0x3b9c, v174
	v_fmac_f16_e32 v174, 0xbb9c, v117
	v_fmamk_f16 v137, v118, 0xbb9c, v119
	v_fmac_f16_e32 v119, 0x3b9c, v118
	;; [unrolled: 2-line block ×3, first 2 shown]
	v_add_f16_e32 v50, v50, v71
	v_fmac_f16_e32 v138, 0xb8b4, v126
	v_fmac_f16_e32 v120, 0x38b4, v126
	v_sub_f16_e32 v143, v71, v73
	v_sub_f16_e32 v66, v66, v73
	;; [unrolled: 1-line block ×5, first 2 shown]
	v_add_f16_e32 v122, v130, v131
	v_fma_f16 v128, -0.5, v147, v56
	v_fmac_f16_e32 v56, -0.5, v155
	v_add_f16_e32 v130, v144, v157
	v_add_f16_e32 v131, v159, v92
	;; [unrolled: 1-line block ×3, first 2 shown]
	v_fmamk_f16 v144, v165, 0xbb9c, v136
	v_fmac_f16_e32 v68, 0x38b4, v118
	v_fmac_f16_e32 v174, 0xb8b4, v118
	;; [unrolled: 1-line block ×6, first 2 shown]
	v_add_f16_e32 v73, v50, v73
	v_fmac_f16_e32 v138, 0x34f2, v121
	v_fmac_f16_e32 v120, 0x34f2, v121
	;; [unrolled: 1-line block ×3, first 2 shown]
	v_add_f16_e32 v48, v172, v154
	v_fma_f16 v121, -0.5, v173, v55
	v_sub_f16_e32 v50, v67, v109
	v_sub_f16_e32 v167, v67, v92
	v_add_f16_e32 v125, v141, v143
	v_add_f16_e32 v127, v145, v146
	v_fmamk_f16 v141, v149, 0x3b9c, v56
	v_fmac_f16_e32 v56, 0xbb9c, v149
	v_add_f16_e32 v131, v131, v93
	v_add_f16_e32 v70, v45, v70
	;; [unrolled: 1-line block ×3, first 2 shown]
	v_fmac_f16_e32 v144, 0x38b4, v163
	v_fmac_f16_e32 v68, 0x34f2, v51
	;; [unrolled: 1-line block ×5, first 2 shown]
	v_add_f16_e32 v45, v170, v171
	v_fmac_f16_e32 v136, 0xb8b4, v163
	v_add_f16_e32 v48, v48, v156
	v_fmamk_f16 v67, v50, 0xbb9c, v121
	v_add_f16_e32 v49, v152, v158
	v_sub_f16_e32 v51, v92, v93
	v_sub_f16_e32 v52, v152, v154
	;; [unrolled: 1-line block ×3, first 2 shown]
	v_fmac_f16_e32 v121, 0x3b9c, v50
	v_fma_f16 v62, v62, v17, -v168
	v_sub_f16_e32 v168, v109, v93
	v_add_f16_e32 v114, v127, v148
	v_fmamk_f16 v127, v66, 0xbb9c, v128
	v_fmac_f16_e32 v128, 0x3b9c, v66
	v_fmac_f16_e32 v141, 0xb8b4, v66
	;; [unrolled: 1-line block ×3, first 2 shown]
	v_add_f16_e32 v66, v131, v109
	v_fmac_f16_e32 v144, 0x34f2, v45
	v_fmac_f16_e32 v136, 0x34f2, v45
	v_fmac_f16_e32 v55, -0.5, v49
	v_add_f16_e32 v109, v48, v158
	v_fmac_f16_e32 v67, 0xb8b4, v51
	v_add_f16_e32 v45, v52, v92
	v_sub_f16_e32 v48, v154, v152
	v_sub_f16_e32 v49, v156, v158
	v_add_f16_e32 v52, v113, v115
	v_fmac_f16_e32 v121, 0x38b4, v51
	v_add_f16_e32 v93, v46, v110
	v_sub_f16_e32 v135, v146, v148
	v_fmamk_f16 v71, v134, 0x3b9c, v123
	v_fmac_f16_e32 v123, 0xbb9c, v134
	v_add_f16_e32 v126, v114, v150
	v_fmamk_f16 v92, v51, 0x3b9c, v55
	v_fmac_f16_e32 v67, 0x34f2, v45
	v_add_f16_e32 v48, v48, v49
	v_fma_f16 v49, -0.5, v52, v46
	v_sub_f16_e32 v52, v160, v166
	v_fmac_f16_e32 v121, 0x34f2, v45
	v_fmac_f16_e32 v55, 0xbb9c, v51
	v_add_f16_e32 v45, v93, v113
	v_sub_f16_e32 v93, v110, v113
	v_sub_f16_e32 v114, v116, v115
	v_add_f16_e32 v117, v110, v116
	v_fmac_f16_e32 v71, 0x38b4, v135
	v_fmac_f16_e32 v123, 0xb8b4, v135
	;; [unrolled: 1-line block ×5, first 2 shown]
	v_fmamk_f16 v122, v52, 0x3b9c, v49
	v_sub_f16_e32 v51, v162, v164
	v_fmac_f16_e32 v55, 0x38b4, v50
	v_add_f16_e32 v45, v45, v115
	v_add_f16_e32 v50, v93, v114
	v_fmac_f16_e32 v46, -0.5, v117
	v_fmac_f16_e32 v49, 0xbb9c, v52
	v_add_f16_e32 v114, v112, v160
	v_fmac_f16_e32 v71, 0x34f2, v124
	v_fmac_f16_e32 v123, 0x34f2, v124
	;; [unrolled: 1-line block ×5, first 2 shown]
	v_add_f16_e32 v124, v45, v116
	v_fmamk_f16 v45, v51, 0xbb9c, v46
	v_sub_f16_e32 v48, v113, v110
	v_sub_f16_e32 v93, v115, v116
	v_fmac_f16_e32 v49, 0xb8b4, v51
	v_add_f16_e32 v117, v162, v164
	v_fmac_f16_e32 v46, 0x3b9c, v51
	v_add_f16_e32 v51, v114, v162
	v_fmamk_f16 v140, v135, 0xbb9c, v53
	v_fmac_f16_e32 v53, 0x3b9c, v135
	v_fmac_f16_e32 v122, 0x34f2, v50
	;; [unrolled: 1-line block ×3, first 2 shown]
	v_add_f16_e32 v48, v48, v93
	v_fma_f16 v114, -0.5, v117, v112
	v_sub_f16_e32 v93, v110, v116
	v_fmac_f16_e32 v49, 0x34f2, v50
	v_fmac_f16_e32 v46, 0xb8b4, v52
	v_add_f16_e32 v50, v51, v164
	v_add_f16_e32 v51, v160, v166
	v_fmac_f16_e32 v140, 0x38b4, v134
	v_fmac_f16_e32 v53, 0xb8b4, v134
	v_sub_f16_e32 v52, v113, v115
	v_sub_f16_e32 v113, v160, v162
	;; [unrolled: 1-line block ×3, first 2 shown]
	v_fmac_f16_e32 v45, 0x34f2, v48
	v_fmamk_f16 v110, v93, 0xbb9c, v114
	v_fmac_f16_e32 v46, 0x34f2, v48
	v_fmac_f16_e32 v112, -0.5, v51
	v_fmac_f16_e32 v114, 0x3b9c, v93
	v_sub_f16_e32 v48, v162, v160
	v_sub_f16_e32 v51, v164, v166
	v_fmac_f16_e32 v140, 0x34f2, v125
	v_fmac_f16_e32 v53, 0x34f2, v125
	v_add_f16_e32 v125, v50, v166
	v_add_f16_e32 v50, v113, v115
	;; [unrolled: 1-line block ×3, first 2 shown]
	v_sub_f16_e32 v153, v150, v148
	v_fmac_f16_e32 v110, 0xb8b4, v52
	v_fmac_f16_e32 v114, 0x38b4, v52
	v_add_f16_e32 v116, v48, v51
	v_add_f16_e32 v51, v47, v64
	v_fmamk_f16 v113, v52, 0x3b9c, v112
	v_fmac_f16_e32 v112, 0xbb9c, v52
	v_fma_f16 v48, -0.5, v115, v47
	v_sub_f16_e32 v117, v58, v61
	v_add_f16_e32 v129, v151, v153
	v_fmac_f16_e32 v127, 0xb8b4, v149
	v_fmac_f16_e32 v128, 0x38b4, v149
	;; [unrolled: 1-line block ×4, first 2 shown]
	v_add_f16_e32 v50, v51, v62
	v_add_f16_e32 v118, v64, v65
	v_fmac_f16_e32 v113, 0xb8b4, v93
	v_fmac_f16_e32 v112, 0x38b4, v93
	v_fmamk_f16 v51, v117, 0x3b9c, v48
	v_sub_f16_e32 v93, v59, v60
	v_sub_f16_e32 v52, v64, v62
	;; [unrolled: 1-line block ×3, first 2 shown]
	v_fmac_f16_e32 v48, 0xbb9c, v117
	v_fmac_f16_e32 v127, 0x34f2, v129
	;; [unrolled: 1-line block ×3, first 2 shown]
	v_add_f16_e32 v50, v50, v63
	v_fmac_f16_e32 v47, -0.5, v118
	v_sub_f16_e32 v118, v62, v64
	v_sub_f16_e32 v129, v63, v65
	v_fmac_f16_e32 v51, 0x38b4, v93
	v_add_f16_e32 v52, v52, v115
	v_fmac_f16_e32 v48, 0xb8b4, v93
	v_fmac_f16_e32 v113, 0x34f2, v116
	;; [unrolled: 1-line block ×3, first 2 shown]
	v_add_f16_e32 v50, v50, v65
	v_add_f16_e32 v115, v111, v58
	v_add_f16_e32 v116, v59, v60
	v_sub_f16_e32 v64, v64, v65
	v_add_f16_e32 v65, v118, v129
	v_add_f16_e32 v118, v58, v61
	v_fmac_f16_e32 v51, 0x34f2, v52
	v_fmac_f16_e32 v48, 0x34f2, v52
	v_fmamk_f16 v52, v93, 0xbb9c, v47
	v_fmac_f16_e32 v47, 0x3b9c, v93
	v_add_f16_e32 v93, v115, v59
	v_fma_f16 v115, -0.5, v116, v111
	v_sub_f16_e32 v62, v62, v63
	v_fmac_f16_e32 v111, -0.5, v118
	v_fmac_f16_e32 v52, 0x38b4, v117
	v_fmac_f16_e32 v47, 0xb8b4, v117
	v_sub_f16_e32 v63, v58, v59
	v_sub_f16_e32 v58, v59, v58
	v_fmamk_f16 v118, v62, 0x3b9c, v111
	v_sub_f16_e32 v59, v60, v61
	v_fmac_f16_e32 v111, 0xbb9c, v62
	v_fmamk_f16 v143, v163, 0x3b9c, v132
	v_add_f16_e32 v93, v93, v60
	v_fmamk_f16 v116, v64, 0xbb9c, v115
	v_fmac_f16_e32 v52, 0x34f2, v65
	v_fmac_f16_e32 v47, 0x34f2, v65
	v_sub_f16_e32 v65, v61, v60
	v_fmac_f16_e32 v115, 0x3b9c, v64
	v_fmac_f16_e32 v132, 0xbb9c, v163
	;; [unrolled: 1-line block ×3, first 2 shown]
	v_add_f16_e32 v58, v58, v59
	v_fmac_f16_e32 v111, 0x38b4, v64
	v_add_f16_e32 v133, v167, v168
	v_fmac_f16_e32 v143, 0x38b4, v165
	v_fmac_f16_e32 v141, 0x34f2, v130
	v_pack_b32_f16 v59, v70, v142
	v_fmac_f16_e32 v56, 0x34f2, v130
	v_add_f16_e32 v117, v93, v61
	v_lshl_add_u32 v93, v88, 2, v245
	v_fmac_f16_e32 v116, 0xb8b4, v62
	v_add_f16_e32 v60, v63, v65
	v_fmac_f16_e32 v115, 0x38b4, v62
	v_fmac_f16_e32 v132, 0xb8b4, v165
	;; [unrolled: 1-line block ×4, first 2 shown]
	v_pack_b32_f16 v58, v68, v138
	v_pack_b32_f16 v61, v71, v127
	v_fmac_f16_e32 v143, 0x34f2, v133
	ds_write_b32 v72, v59
	v_pack_b32_f16 v59, v137, v139
	v_pack_b32_f16 v62, v140, v141
	;; [unrolled: 1-line block ×4, first 2 shown]
	v_add_nc_u32_e32 v56, 0x200, v93
	v_fmac_f16_e32 v116, 0x34f2, v60
	v_fmac_f16_e32 v115, 0x34f2, v60
	v_pack_b32_f16 v60, v174, v120
	v_pack_b32_f16 v63, v123, v128
	v_add_nc_u32_e32 v64, 0x400, v93
	v_fmac_f16_e32 v132, 0x34f2, v133
	v_pack_b32_f16 v65, v73, v126
	ds_write2_b32 v93, v58, v61 offset0:85 offset1:102
	ds_write2_b32 v93, v59, v62 offset0:170 offset1:187
	;; [unrolled: 1-line block ×4, first 2 shown]
	v_pack_b32_f16 v53, v66, v109
	v_pack_b32_f16 v56, v143, v67
	;; [unrolled: 1-line block ×5, first 2 shown]
	ds_write2_b32 v93, v65, v53 offset0:17 offset1:34
	ds_write_b32 v72, v56 offset:476
	ds_write_b32 v72, v57 offset:816
	;; [unrolled: 1-line block ×4, first 2 shown]
	v_pack_b32_f16 v53, v124, v125
	v_pack_b32_f16 v55, v122, v110
	;; [unrolled: 1-line block ×5, first 2 shown]
	ds_write_b32 v93, v53 offset:204
	ds_write_b32 v72, v55 offset:544
	;; [unrolled: 1-line block ×5, first 2 shown]
	v_pack_b32_f16 v53, v50, v117
	v_pack_b32_f16 v55, v51, v116
	;; [unrolled: 1-line block ×5, first 2 shown]
	ds_write_b32 v93, v53 offset:272
	ds_write_b32 v72, v55 offset:612
	;; [unrolled: 1-line block ×5, first 2 shown]
	s_waitcnt lgkmcnt(0)
	s_barrier
	buffer_gl0_inv
	s_clause 0x10
	global_load_dword v70, v[36:37], off offset:1700
	global_load_dword v71, v54, s[0:1] offset:100
	global_load_dword v73, v54, s[0:1] offset:200
	;; [unrolled: 1-line block ×16, first 2 shown]
	ds_read2_b32 v[55:56], v72 offset1:25
	ds_read2_b32 v[57:58], v72 offset0:50 offset1:75
	ds_read2_b32 v[59:60], v72 offset0:100 offset1:125
	v_add_nc_u32_e32 v53, 0x200, v72
	ds_read2_b32 v[61:62], v72 offset0:150 offset1:175
	ds_read2_b32 v[63:64], v72 offset0:200 offset1:225
	;; [unrolled: 1-line block ×5, first 2 shown]
	ds_read_b32 v132, v72 offset:1600
	s_waitcnt lgkmcnt(8)
	v_lshrrev_b32_e32 v133, 16, v55
	v_lshrrev_b32_e32 v134, 16, v56
	s_waitcnt lgkmcnt(7)
	v_lshrrev_b32_e32 v135, 16, v57
	v_lshrrev_b32_e32 v136, 16, v58
	;; [unrolled: 3-line block ×8, first 2 shown]
	s_waitcnt lgkmcnt(0)
	v_lshrrev_b32_e32 v149, 16, v132
	s_waitcnt vmcnt(16)
	v_mul_f16_sdwa v150, v133, v70 dst_sel:DWORD dst_unused:UNUSED_PAD src0_sel:DWORD src1_sel:WORD_1
	v_mul_f16_sdwa v151, v55, v70 dst_sel:DWORD dst_unused:UNUSED_PAD src0_sel:DWORD src1_sel:WORD_1
	s_waitcnt vmcnt(15)
	v_mul_f16_sdwa v152, v134, v71 dst_sel:DWORD dst_unused:UNUSED_PAD src0_sel:DWORD src1_sel:WORD_1
	v_mul_f16_sdwa v153, v56, v71 dst_sel:DWORD dst_unused:UNUSED_PAD src0_sel:DWORD src1_sel:WORD_1
	;; [unrolled: 3-line block ×17, first 2 shown]
	v_fma_f16 v55, v55, v70, -v150
	v_fmac_f16_e32 v151, v133, v70
	v_fma_f16 v56, v56, v71, -v152
	v_fmac_f16_e32 v153, v134, v71
	;; [unrolled: 2-line block ×17, first 2 shown]
	v_pack_b32_f16 v55, v55, v151
	v_pack_b32_f16 v56, v56, v153
	;; [unrolled: 1-line block ×17, first 2 shown]
	ds_write2_b32 v72, v55, v56 offset1:25
	ds_write2_b32 v72, v57, v58 offset0:50 offset1:75
	ds_write2_b32 v72, v59, v60 offset0:100 offset1:125
	;; [unrolled: 1-line block ×7, first 2 shown]
	ds_write_b32 v72, v73 offset:1600
	s_and_saveexec_b32 s2, vcc_lo
	s_cbranch_execz .LBB0_9
; %bb.8:
	v_add_co_u32 v54, s0, s0, v54
	v_add_co_ci_u32_e64 v55, null, s1, 0, s0
	s_clause 0x10
	global_load_dword v56, v[54:55], off offset:68
	global_load_dword v68, v[54:55], off offset:168
	;; [unrolled: 1-line block ×17, first 2 shown]
	ds_read_b32 v54, v93 offset:68
	s_waitcnt lgkmcnt(0)
	v_lshrrev_b32_e32 v55, 16, v54
	s_waitcnt vmcnt(16)
	v_mul_f16_sdwa v57, v55, v56 dst_sel:DWORD dst_unused:UNUSED_PAD src0_sel:DWORD src1_sel:WORD_1
	v_mul_f16_sdwa v58, v54, v56 dst_sel:DWORD dst_unused:UNUSED_PAD src0_sel:DWORD src1_sel:WORD_1
	v_fma_f16 v54, v54, v56, -v57
	v_fmac_f16_e32 v58, v55, v56
	v_pack_b32_f16 v54, v54, v58
	ds_write_b32 v93, v54 offset:68
	ds_read2_b32 v[54:55], v72 offset0:42 offset1:67
	ds_read2_b32 v[56:57], v72 offset0:92 offset1:117
	;; [unrolled: 1-line block ×8, first 2 shown]
	s_waitcnt lgkmcnt(7)
	v_lshrrev_b32_e32 v130, 16, v54
	s_waitcnt vmcnt(15)
	v_mul_f16_sdwa v131, v54, v68 dst_sel:DWORD dst_unused:UNUSED_PAD src0_sel:DWORD src1_sel:WORD_1
	v_lshrrev_b32_e32 v132, 16, v55
	s_waitcnt vmcnt(14)
	v_mul_f16_sdwa v133, v55, v70 dst_sel:DWORD dst_unused:UNUSED_PAD src0_sel:DWORD src1_sel:WORD_1
	s_waitcnt lgkmcnt(6)
	v_lshrrev_b32_e32 v134, 16, v56
	s_waitcnt vmcnt(13)
	v_mul_f16_sdwa v135, v56, v71 dst_sel:DWORD dst_unused:UNUSED_PAD src0_sel:DWORD src1_sel:WORD_1
	v_lshrrev_b32_e32 v136, 16, v57
	s_waitcnt vmcnt(12)
	v_mul_f16_sdwa v137, v57, v73 dst_sel:DWORD dst_unused:UNUSED_PAD src0_sel:DWORD src1_sel:WORD_1
	;; [unrolled: 7-line block ×7, first 2 shown]
	s_waitcnt lgkmcnt(0)
	v_lshrrev_b32_e32 v158, 16, v109
	s_waitcnt vmcnt(1)
	v_mul_f16_sdwa v159, v109, v128 dst_sel:DWORD dst_unused:UNUSED_PAD src0_sel:DWORD src1_sel:WORD_1
	v_lshrrev_b32_e32 v160, 16, v110
	v_mul_f16_sdwa v162, v130, v68 dst_sel:DWORD dst_unused:UNUSED_PAD src0_sel:DWORD src1_sel:WORD_1
	v_fmac_f16_e32 v131, v130, v68
	v_mul_f16_sdwa v130, v132, v70 dst_sel:DWORD dst_unused:UNUSED_PAD src0_sel:DWORD src1_sel:WORD_1
	v_fmac_f16_e32 v133, v132, v70
	;; [unrolled: 2-line block ×9, first 2 shown]
	v_mul_f16_sdwa v146, v148, v123 dst_sel:DWORD dst_unused:UNUSED_PAD src0_sel:DWORD src1_sel:WORD_1
	s_waitcnt vmcnt(0)
	v_mul_f16_sdwa v161, v110, v129 dst_sel:DWORD dst_unused:UNUSED_PAD src0_sel:DWORD src1_sel:WORD_1
	v_fmac_f16_e32 v149, v148, v123
	v_mul_f16_sdwa v148, v150, v124 dst_sel:DWORD dst_unused:UNUSED_PAD src0_sel:DWORD src1_sel:WORD_1
	v_fmac_f16_e32 v151, v150, v124
	;; [unrolled: 2-line block ×6, first 2 shown]
	v_mul_f16_sdwa v158, v160, v129 dst_sel:DWORD dst_unused:UNUSED_PAD src0_sel:DWORD src1_sel:WORD_1
	v_fma_f16 v54, v54, v68, -v162
	v_fma_f16 v55, v55, v70, -v130
	;; [unrolled: 1-line block ×10, first 2 shown]
	v_fmac_f16_e32 v161, v160, v129
	v_fma_f16 v64, v64, v124, -v148
	v_fma_f16 v65, v65, v125, -v150
	;; [unrolled: 1-line block ×6, first 2 shown]
	v_pack_b32_f16 v54, v54, v131
	v_pack_b32_f16 v55, v55, v133
	;; [unrolled: 1-line block ×16, first 2 shown]
	ds_write2_b32 v72, v54, v55 offset0:42 offset1:67
	ds_write2_b32 v72, v56, v57 offset0:92 offset1:117
	;; [unrolled: 1-line block ×8, first 2 shown]
.LBB0_9:
	s_or_b32 exec_lo, exec_lo, s2
	s_waitcnt lgkmcnt(0)
	s_barrier
	buffer_gl0_inv
	ds_read2_b32 v[55:56], v72 offset1:25
	ds_read2_b32 v[67:68], v72 offset0:50 offset1:75
	ds_read2_b32 v[63:64], v72 offset0:100 offset1:125
	;; [unrolled: 1-line block ×7, first 2 shown]
	ds_read_b32 v126, v72 offset:1600
	v_lshrrev_b32_e32 v54, 16, v104
	s_and_saveexec_b32 s0, vcc_lo
	s_cbranch_execz .LBB0_11
; %bb.10:
	v_add_nc_u32_e32 v39, 0x400, v93
	ds_read2_b32 v[45:46], v93 offset0:17 offset1:42
	ds_read2_b32 v[49:50], v93 offset0:67 offset1:92
	;; [unrolled: 1-line block ×8, first 2 shown]
	ds_read_b32 v95, v93 offset:1668
	s_waitcnt lgkmcnt(5)
	v_lshrrev_b32_e32 v111, 16, v47
	v_lshrrev_b32_e32 v113, 16, v45
	;; [unrolled: 1-line block ×8, first 2 shown]
	s_waitcnt lgkmcnt(4)
	v_lshrrev_b32_e32 v104, 16, v53
	v_lshrrev_b32_e32 v103, 16, v54
	s_waitcnt lgkmcnt(3)
	v_lshrrev_b32_e32 v102, 16, v43
	v_lshrrev_b32_e32 v100, 16, v44
	;; [unrolled: 3-line block ×4, first 2 shown]
	s_waitcnt lgkmcnt(0)
	v_bfi_b32 v101, 0xffff, v53, v95
.LBB0_11:
	s_or_b32 exec_lo, exec_lo, s0
	s_waitcnt lgkmcnt(8)
	v_pk_add_f16 v71, v55, v56
	s_waitcnt lgkmcnt(0)
	v_pk_add_f16 v121, v126, v56
	v_pk_add_f16 v120, v56, v126 neg_lo:[0,1] neg_hi:[0,1]
	v_mov_b32_e32 v145, 0xbb29
	v_mov_b32_e32 v122, 0x3722
	v_pk_add_f16 v71, v71, v67
	v_mov_b32_e32 v129, 0xba62
	v_mov_b32_e32 v128, 0xb8d2
	v_mul_f16_sdwa v127, v120, v145 dst_sel:DWORD dst_unused:UNUSED_PAD src0_sel:WORD_1 src1_sel:DWORD
	v_mul_f16_sdwa v130, v121, v122 dst_sel:DWORD dst_unused:UNUSED_PAD src0_sel:WORD_1 src1_sel:DWORD
	v_pk_add_f16 v56, v71, v68
	v_pk_mul_f16 v71, 0xb5c8, v120 op_sel_hi:[0,1]
	v_mul_f16_sdwa v138, v120, v129 dst_sel:DWORD dst_unused:UNUSED_PAD src0_sel:WORD_1 src1_sel:DWORD
	v_fmamk_f16 v141, v121, 0x3722, v127
	v_fma_f16 v127, v121, 0x3722, -v127
	v_pk_add_f16 v56, v56, v63
	v_pk_fma_f16 v119, 0x3b76, v121, v71 op_sel:[0,0,1] op_sel_hi:[0,1,0] neg_lo:[0,0,1] neg_hi:[0,0,1]
	v_fmamk_f16 v142, v120, 0x3b29, v130
	v_mov_b32_e32 v137, 0xb964
	v_add_f16_e32 v150, v55, v127
	v_pk_add_f16 v56, v56, v64
	v_fmac_f16_e32 v130, 0xbb29, v120
	v_add_f16_sdwa v149, v55, v142 dst_sel:DWORD dst_unused:UNUSED_PAD src0_sel:WORD_1 src1_sel:DWORD
	v_mov_b32_e32 v125, 0x39e9
	v_mov_b32_e32 v136, 0xbbf7
	v_pk_add_f16 v56, v56, v59
	v_mul_f16_sdwa v73, v120, v137 dst_sel:DWORD dst_unused:UNUSED_PAD src0_sel:WORD_1 src1_sel:DWORD
	v_add_f16_sdwa v151, v55, v130 dst_sel:DWORD dst_unused:UNUSED_PAD src0_sel:WORD_1 src1_sel:DWORD
	v_mov_b32_e32 v135, 0x2de8
	v_mul_f16_sdwa v92, v121, v125 dst_sel:DWORD dst_unused:UNUSED_PAD src0_sel:WORD_1 src1_sel:DWORD
	v_pk_add_f16 v56, v56, v60
	v_mul_f16_sdwa v131, v120, v136 dst_sel:DWORD dst_unused:UNUSED_PAD src0_sel:WORD_1 src1_sel:DWORD
	v_add_f16_e32 v141, v55, v141
	v_mul_f16_sdwa v132, v121, v135 dst_sel:DWORD dst_unused:UNUSED_PAD src0_sel:WORD_1 src1_sel:DWORD
	v_fmamk_f16 v140, v120, 0x3964, v92
	v_pk_add_f16 v139, v56, v57
	v_pk_fma_f16 v56, 0x3b76, v121, v71 op_sel:[0,0,1] op_sel_hi:[0,1,0]
	v_fmamk_f16 v71, v121, 0x39e9, v73
	v_fma_f16 v73, v121, 0x39e9, -v73
	v_fmac_f16_e32 v92, 0xb964, v120
	v_pk_add_f16 v139, v139, v58
	v_bfi_b32 v148, 0xffff, v56, v119
	v_add_f16_e32 v71, v55, v71
	v_add_f16_sdwa v140, v55, v140 dst_sel:DWORD dst_unused:UNUSED_PAD src0_sel:WORD_1 src1_sel:DWORD
	v_add_f16_e32 v73, v55, v73
	v_pk_add_f16 v139, v139, v61
	v_pk_add_f16 v142, v55, v148
	v_mul_f16_sdwa v148, v121, v128 dst_sel:DWORD dst_unused:UNUSED_PAD src0_sel:WORD_1 src1_sel:DWORD
	v_add_f16_sdwa v92, v55, v92 dst_sel:DWORD dst_unused:UNUSED_PAD src0_sel:WORD_1 src1_sel:DWORD
	v_mov_b32_e32 v123, 0xbbb2
	v_pk_add_f16 v139, v139, v62
	v_mov_b32_e32 v124, 0xb461
	v_fmamk_f16 v130, v120, 0x3a62, v148
	v_fmamk_f16 v143, v121, 0x2de8, v131
	;; [unrolled: 1-line block ×3, first 2 shown]
	v_pk_add_f16 v139, v139, v65
	v_fma_f16 v131, v121, 0x2de8, -v131
	v_add_f16_sdwa v154, v55, v130 dst_sel:DWORD dst_unused:UNUSED_PAD src0_sel:WORD_1 src1_sel:DWORD
	v_pk_add_f16 v130, v70, v67
	v_mul_f16_sdwa v133, v120, v123 dst_sel:DWORD dst_unused:UNUSED_PAD src0_sel:WORD_1 src1_sel:DWORD
	v_pk_add_f16 v139, v139, v66
	v_mul_f16_sdwa v134, v121, v124 dst_sel:DWORD dst_unused:UNUSED_PAD src0_sel:WORD_1 src1_sel:DWORD
	v_fmac_f16_e32 v132, 0xbbf7, v120
	v_mul_f16_sdwa v160, v130, v135 dst_sel:DWORD dst_unused:UNUSED_PAD src0_sel:WORD_1 src1_sel:DWORD
	v_mul_f16_sdwa v164, v130, v128 dst_sel:DWORD dst_unused:UNUSED_PAD src0_sel:WORD_1 src1_sel:DWORD
	v_pk_add_f16 v139, v139, v69
	v_add_f16_e32 v143, v55, v143
	v_add_f16_sdwa v144, v55, v144 dst_sel:DWORD dst_unused:UNUSED_PAD src0_sel:WORD_1 src1_sel:DWORD
	v_fmamk_f16 v146, v121, 0xb461, v133
	v_fmamk_f16 v147, v120, 0x3bb2, v134
	v_pk_add_f16 v127, v139, v70
	v_add_f16_e32 v139, v55, v131
	v_mov_b32_e32 v131, 0xbacd
	v_fma_f16 v133, v121, 0xb461, -v133
	v_add_f16_sdwa v152, v55, v132 dst_sel:DWORD dst_unused:UNUSED_PAD src0_sel:WORD_1 src1_sel:DWORD
	v_pk_add_f16 v126, v127, v126
	v_fmamk_f16 v127, v121, 0xb8d2, v138
	v_fma_f16 v138, v121, 0xb8d2, -v138
	v_add_f16_e32 v146, v55, v146
	v_add_f16_sdwa v147, v55, v147 dst_sel:DWORD dst_unused:UNUSED_PAD src0_sel:WORD_1 src1_sel:DWORD
	v_add_f16_e32 v133, v55, v133
	v_add_f16_e32 v153, v55, v127
	v_pk_add_f16 v127, v67, v70 neg_lo:[0,1] neg_hi:[0,1]
	v_add_f16_e32 v159, v55, v138
	v_mov_b32_e32 v132, 0xb836
	v_fmac_f16_e32 v134, 0xbbb2, v120
	v_mul_f16_sdwa v156, v121, v131 dst_sel:DWORD dst_unused:UNUSED_PAD src0_sel:WORD_1 src1_sel:DWORD
	v_pk_mul_f16 v70, 0xb964, v127 op_sel_hi:[0,1]
	v_mul_f16_sdwa v138, v127, v136 dst_sel:DWORD dst_unused:UNUSED_PAD src0_sel:WORD_1 src1_sel:DWORD
	v_fmamk_f16 v163, v127, 0x3bf7, v160
	v_fmac_f16_e32 v160, 0xbbf7, v127
	v_mul_f16_sdwa v155, v120, v132 dst_sel:DWORD dst_unused:UNUSED_PAD src0_sel:WORD_1 src1_sel:DWORD
	v_pk_fma_f16 v67, 0x39e9, v130, v70 op_sel:[0,0,1] op_sel_hi:[0,1,0]
	v_pk_fma_f16 v70, 0x39e9, v130, v70 op_sel:[0,0,1] op_sel_hi:[0,1,0] neg_lo:[0,0,1] neg_hi:[0,0,1]
	v_fmamk_f16 v162, v130, 0x2de8, v138
	v_fma_f16 v138, v130, 0x2de8, -v138
	v_add_f16_e32 v163, v163, v140
	v_mov_b32_e32 v140, 0xb1e1
	v_bfi_b32 v161, 0xffff, v67, v70
	v_add_f16_e32 v71, v162, v71
	v_mul_f16_sdwa v162, v127, v129 dst_sel:DWORD dst_unused:UNUSED_PAD src0_sel:WORD_1 src1_sel:DWORD
	v_add_f16_e32 v73, v138, v73
	v_add_f16_e32 v92, v160, v92
	v_pk_add_f16 v161, v161, v142
	v_fmamk_f16 v160, v127, 0x3a62, v164
	v_fmamk_f16 v138, v130, 0xb8d2, v162
	v_mov_b32_e32 v142, 0xbbdd
	v_fma_f16 v162, v130, 0xb8d2, -v162
	v_fmac_f16_e32 v164, 0xba62, v127
	v_add_f16_e32 v149, v160, v149
	v_add_f16_e32 v141, v138, v141
	v_mul_f16_sdwa v138, v127, v140 dst_sel:DWORD dst_unused:UNUSED_PAD src0_sel:WORD_1 src1_sel:DWORD
	v_mul_f16_sdwa v160, v130, v142 dst_sel:DWORD dst_unused:UNUSED_PAD src0_sel:WORD_1 src1_sel:DWORD
	v_add_f16_e32 v150, v162, v150
	v_mov_b32_e32 v162, 0x3836
	v_add_f16_e32 v151, v164, v151
	v_fmamk_f16 v165, v130, 0xbbdd, v138
	v_fmamk_f16 v166, v127, 0x31e1, v160
	v_fma_f16 v138, v130, 0xbbdd, -v138
	v_fmac_f16_e32 v160, 0xb1e1, v127
	v_add_f16_sdwa v134, v55, v134 dst_sel:DWORD dst_unused:UNUSED_PAD src0_sel:WORD_1 src1_sel:DWORD
	v_add_f16_e32 v164, v165, v143
	v_mul_f16_sdwa v143, v127, v162 dst_sel:DWORD dst_unused:UNUSED_PAD src0_sel:WORD_1 src1_sel:DWORD
	v_add_f16_e32 v144, v166, v144
	v_mul_f16_sdwa v165, v130, v131 dst_sel:DWORD dst_unused:UNUSED_PAD src0_sel:WORD_1 src1_sel:DWORD
	v_mov_b32_e32 v166, 0x3bb2
	v_add_f16_e32 v139, v138, v139
	v_fmamk_f16 v138, v130, 0xbacd, v143
	v_add_f16_e32 v152, v160, v152
	v_fmamk_f16 v167, v127, 0xb836, v165
	v_fma_f16 v143, v130, 0xbacd, -v143
	v_mul_f16_sdwa v160, v127, v166 dst_sel:DWORD dst_unused:UNUSED_PAD src0_sel:WORD_1 src1_sel:DWORD
	v_add_f16_e32 v146, v138, v146
	v_mov_b32_e32 v138, 0x3b29
	v_add_f16_e32 v167, v167, v147
	v_mul_f16_sdwa v147, v130, v124 dst_sel:DWORD dst_unused:UNUSED_PAD src0_sel:WORD_1 src1_sel:DWORD
	v_add_f16_e32 v168, v143, v133
	v_fmamk_f16 v133, v130, 0xb461, v160
	v_fmac_f16_e32 v148, 0xba62, v120
	v_fmamk_f16 v157, v121, 0xbacd, v155
	v_fmac_f16_e32 v165, 0x3836, v127
	v_fmamk_f16 v143, v127, 0xbbb2, v147
	v_fma_f16 v160, v130, 0xb461, -v160
	v_add_f16_e32 v153, v133, v153
	v_mul_f16_sdwa v169, v127, v138 dst_sel:DWORD dst_unused:UNUSED_PAD src0_sel:WORD_1 src1_sel:DWORD
	v_pk_add_f16 v133, v68, v69 neg_lo:[0,1] neg_hi:[0,1]
	v_fmamk_f16 v158, v120, 0x3836, v156
	v_add_f16_sdwa v148, v55, v148 dst_sel:DWORD dst_unused:UNUSED_PAD src0_sel:WORD_1 src1_sel:DWORD
	v_add_f16_e32 v157, v55, v157
	v_fma_f16 v155, v121, 0xbacd, -v155
	v_add_f16_e32 v165, v165, v134
	v_add_f16_e32 v154, v143, v154
	;; [unrolled: 1-line block ×3, first 2 shown]
	v_fmac_f16_e32 v147, 0x3bb2, v127
	v_fmamk_f16 v143, v130, 0x3722, v169
	v_mul_f16_sdwa v160, v130, v122 dst_sel:DWORD dst_unused:UNUSED_PAD src0_sel:WORD_1 src1_sel:DWORD
	v_pk_add_f16 v134, v69, v68
	v_pk_mul_f16 v69, 0xbb29, v133 op_sel_hi:[0,1]
	v_add_f16_sdwa v158, v55, v158 dst_sel:DWORD dst_unused:UNUSED_PAD src0_sel:WORD_1 src1_sel:DWORD
	v_fmac_f16_e32 v156, 0xb836, v120
	v_add_f16_e32 v155, v55, v155
	v_add_f16_e32 v148, v147, v148
	;; [unrolled: 1-line block ×3, first 2 shown]
	v_fmamk_f16 v143, v127, 0xbb29, v160
	v_fma_f16 v147, v130, 0x3722, -v169
	v_pk_fma_f16 v68, 0x3722, v134, v69 op_sel:[0,0,1] op_sel_hi:[0,1,0]
	v_pk_fma_f16 v69, 0x3722, v134, v69 op_sel:[0,0,1] op_sel_hi:[0,1,0] neg_lo:[0,0,1] neg_hi:[0,0,1]
	v_mul_f16_sdwa v169, v133, v129 dst_sel:DWORD dst_unused:UNUSED_PAD src0_sel:WORD_1 src1_sel:DWORD
	v_add_f16_sdwa v156, v55, v156 dst_sel:DWORD dst_unused:UNUSED_PAD src0_sel:WORD_1 src1_sel:DWORD
	v_add_f16_e32 v158, v143, v158
	v_add_f16_e32 v155, v147, v155
	v_fmac_f16_e32 v160, 0x3b29, v127
	v_bfi_b32 v143, 0xffff, v68, v69
	v_fmamk_f16 v147, v134, 0xb8d2, v169
	v_mul_f16_sdwa v170, v134, v128 dst_sel:DWORD dst_unused:UNUSED_PAD src0_sel:WORD_1 src1_sel:DWORD
	v_mov_b32_e32 v171, 0x31e1
	v_add_f16_e32 v156, v160, v156
	v_pk_add_f16 v160, v143, v161
	v_add_f16_e32 v71, v147, v71
	v_fmamk_f16 v143, v133, 0x3a62, v170
	v_mul_f16_sdwa v147, v133, v171 dst_sel:DWORD dst_unused:UNUSED_PAD src0_sel:WORD_1 src1_sel:DWORD
	v_mul_f16_sdwa v161, v134, v142 dst_sel:DWORD dst_unused:UNUSED_PAD src0_sel:WORD_1 src1_sel:DWORD
	v_fma_f16 v169, v134, 0xb8d2, -v169
	v_fmac_f16_e32 v170, 0xba62, v133
	v_add_f16_e32 v163, v143, v163
	v_fmamk_f16 v143, v134, 0xbbdd, v147
	v_fmamk_f16 v171, v133, 0xb1e1, v161
	v_add_f16_e32 v73, v169, v73
	v_add_f16_e32 v92, v170, v92
	v_fma_f16 v147, v134, 0xbbdd, -v147
	v_add_f16_e32 v169, v143, v141
	v_mul_f16_sdwa v141, v133, v166 dst_sel:DWORD dst_unused:UNUSED_PAD src0_sel:WORD_1 src1_sel:DWORD
	v_mul_f16_sdwa v170, v134, v124 dst_sel:DWORD dst_unused:UNUSED_PAD src0_sel:WORD_1 src1_sel:DWORD
	v_fmac_f16_e32 v161, 0x31e1, v133
	v_mov_b32_e32 v143, 0x3964
	v_add_f16_e32 v149, v171, v149
	v_add_f16_e32 v150, v147, v150
	v_fmamk_f16 v147, v134, 0xb461, v141
	v_fmamk_f16 v171, v133, 0xbbb2, v170
	v_fma_f16 v141, v134, 0xb461, -v141
	v_add_f16_e32 v151, v161, v151
	v_mul_f16_sdwa v161, v133, v143 dst_sel:DWORD dst_unused:UNUSED_PAD src0_sel:WORD_1 src1_sel:DWORD
	v_mov_b32_e32 v172, 0xb5c8
	v_add_f16_e32 v144, v171, v144
	v_add_f16_e32 v171, v141, v139
	;; [unrolled: 1-line block ×3, first 2 shown]
	v_fmamk_f16 v139, v134, 0x39e9, v161
	v_fmac_f16_e32 v170, 0x3bb2, v133
	v_mov_b32_e32 v147, 0x3b76
	v_mul_f16_sdwa v141, v134, v125 dst_sel:DWORD dst_unused:UNUSED_PAD src0_sel:WORD_1 src1_sel:DWORD
	v_fma_f16 v161, v134, 0x39e9, -v161
	v_add_f16_e32 v146, v139, v146
	v_mul_f16_sdwa v139, v133, v172 dst_sel:DWORD dst_unused:UNUSED_PAD src0_sel:WORD_1 src1_sel:DWORD
	v_add_f16_e32 v152, v170, v152
	v_mul_f16_sdwa v170, v134, v147 dst_sel:DWORD dst_unused:UNUSED_PAD src0_sel:WORD_1 src1_sel:DWORD
	v_fmamk_f16 v173, v133, 0xb964, v141
	v_fmac_f16_e32 v141, 0x3964, v133
	v_fmamk_f16 v174, v134, 0x3b76, v139
	v_add_f16_e32 v161, v161, v168
	v_fmamk_f16 v175, v133, 0x35c8, v170
	v_mul_f16_sdwa v168, v133, v136 dst_sel:DWORD dst_unused:UNUSED_PAD src0_sel:WORD_1 src1_sel:DWORD
	v_add_f16_e32 v165, v141, v165
	v_add_f16_e32 v153, v174, v153
	v_fma_f16 v174, v134, 0x3b76, -v139
	v_pk_add_f16 v139, v63, v66 neg_lo:[0,1] neg_hi:[0,1]
	v_pk_add_f16 v141, v66, v63
	v_add_f16_e32 v167, v173, v167
	v_add_f16_e32 v154, v175, v154
	v_mul_f16_sdwa v173, v134, v135 dst_sel:DWORD dst_unused:UNUSED_PAD src0_sel:WORD_1 src1_sel:DWORD
	v_pk_mul_f16 v66, 0xbbf7, v139 op_sel_hi:[0,1]
	v_fmac_f16_e32 v170, 0xb5c8, v133
	v_fmamk_f16 v175, v134, 0x2de8, v168
	v_add_f16_e32 v159, v174, v159
	v_fmamk_f16 v176, v133, 0x3bf7, v173
	v_pk_fma_f16 v63, 0x2de8, v141, v66 op_sel:[0,0,1] op_sel_hi:[0,1,0]
	v_pk_fma_f16 v66, 0x2de8, v141, v66 op_sel:[0,0,1] op_sel_hi:[0,1,0] neg_lo:[0,0,1] neg_hi:[0,0,1]
	v_add_f16_e32 v148, v170, v148
	v_add_f16_e32 v157, v175, v157
	v_mul_f16_sdwa v170, v139, v140 dst_sel:DWORD dst_unused:UNUSED_PAD src0_sel:WORD_1 src1_sel:DWORD
	v_mul_f16_sdwa v174, v141, v142 dst_sel:DWORD dst_unused:UNUSED_PAD src0_sel:WORD_1 src1_sel:DWORD
	v_fma_f16 v168, v134, 0x2de8, -v168
	v_fmac_f16_e32 v173, 0xbbf7, v133
	v_bfi_b32 v175, 0xffff, v63, v66
	v_add_f16_e32 v158, v176, v158
	v_fmamk_f16 v176, v141, 0xbbdd, v170
	v_fmamk_f16 v177, v139, 0x31e1, v174
	v_add_f16_e32 v155, v168, v155
	v_add_f16_e32 v156, v173, v156
	v_pk_add_f16 v160, v175, v160
	v_mul_f16_sdwa v168, v139, v166 dst_sel:DWORD dst_unused:UNUSED_PAD src0_sel:WORD_1 src1_sel:DWORD
	v_fma_f16 v170, v141, 0xbbdd, -v170
	v_fmac_f16_e32 v174, 0xb1e1, v139
	v_mov_b32_e32 v173, 0x35c8
	v_mul_f16_sdwa v175, v141, v124 dst_sel:DWORD dst_unused:UNUSED_PAD src0_sel:WORD_1 src1_sel:DWORD
	v_add_f16_e32 v71, v176, v71
	v_fmamk_f16 v176, v141, 0xb461, v168
	v_add_f16_e32 v73, v170, v73
	v_add_f16_e32 v92, v174, v92
	v_mul_f16_sdwa v170, v139, v173 dst_sel:DWORD dst_unused:UNUSED_PAD src0_sel:WORD_1 src1_sel:DWORD
	v_fmamk_f16 v174, v139, 0xbbb2, v175
	v_add_f16_e32 v169, v176, v169
	v_fmac_f16_e32 v175, 0x3bb2, v139
	v_fma_f16 v168, v141, 0xb461, -v168
	v_fmamk_f16 v176, v141, 0x3b76, v170
	v_add_f16_e32 v149, v174, v149
	v_mul_f16_sdwa v174, v141, v147 dst_sel:DWORD dst_unused:UNUSED_PAD src0_sel:WORD_1 src1_sel:DWORD
	v_add_f16_e32 v151, v175, v151
	v_add_f16_e32 v150, v168, v150
	;; [unrolled: 1-line block ×3, first 2 shown]
	v_mul_f16_sdwa v176, v141, v122 dst_sel:DWORD dst_unused:UNUSED_PAD src0_sel:WORD_1 src1_sel:DWORD
	v_fmamk_f16 v175, v139, 0xb5c8, v174
	v_mul_f16_sdwa v168, v139, v145 dst_sel:DWORD dst_unused:UNUSED_PAD src0_sel:WORD_1 src1_sel:DWORD
	v_add_f16_e32 v163, v177, v163
	v_fma_f16 v170, v141, 0x3b76, -v170
	v_fmac_f16_e32 v174, 0x35c8, v139
	v_add_f16_e32 v175, v175, v144
	v_fmamk_f16 v144, v139, 0x3b29, v176
	v_fmamk_f16 v177, v141, 0x3722, v168
	v_add_f16_e32 v170, v170, v171
	v_add_f16_e32 v152, v174, v152
	v_mul_f16_sdwa v174, v141, v131 dst_sel:DWORD dst_unused:UNUSED_PAD src0_sel:WORD_1 src1_sel:DWORD
	v_add_f16_e32 v167, v144, v167
	v_fma_f16 v144, v141, 0x3722, -v168
	v_add_f16_e32 v171, v177, v146
	v_mul_f16_sdwa v146, v139, v132 dst_sel:DWORD dst_unused:UNUSED_PAD src0_sel:WORD_1 src1_sel:DWORD
	v_fmac_f16_e32 v176, 0xbb29, v139
	v_mov_b32_e32 v177, 0x3a62
	v_add_f16_e32 v161, v144, v161
	v_pk_add_f16 v144, v64, v65 neg_lo:[0,1] neg_hi:[0,1]
	v_fmamk_f16 v168, v141, 0xbacd, v146
	v_fmamk_f16 v178, v139, 0x3836, v174
	v_add_f16_e32 v165, v176, v165
	v_fma_f16 v176, v141, 0xbacd, -v146
	v_fmac_f16_e32 v174, 0xb836, v139
	v_mul_f16_sdwa v179, v141, v128 dst_sel:DWORD dst_unused:UNUSED_PAD src0_sel:WORD_1 src1_sel:DWORD
	v_pk_add_f16 v146, v65, v64
	v_pk_mul_f16 v65, 0xbbb2, v144 op_sel_hi:[0,1]
	v_add_f16_e32 v153, v168, v153
	v_mul_f16_sdwa v168, v139, v177 dst_sel:DWORD dst_unused:UNUSED_PAD src0_sel:WORD_1 src1_sel:DWORD
	v_add_f16_e32 v148, v174, v148
	v_fmamk_f16 v174, v139, 0xba62, v179
	v_pk_fma_f16 v64, 0xb461, v146, v65 op_sel:[0,0,1] op_sel_hi:[0,1,0]
	v_pk_fma_f16 v65, 0xb461, v146, v65 op_sel:[0,0,1] op_sel_hi:[0,1,0] neg_lo:[0,0,1] neg_hi:[0,0,1]
	v_add_f16_e32 v154, v178, v154
	v_fmamk_f16 v178, v141, 0xb8d2, v168
	v_fma_f16 v168, v141, 0xb8d2, -v168
	v_mul_f16_sdwa v162, v144, v162 dst_sel:DWORD dst_unused:UNUSED_PAD src0_sel:WORD_1 src1_sel:DWORD
	v_add_f16_e32 v158, v174, v158
	v_bfi_b32 v174, 0xffff, v64, v65
	v_add_f16_e32 v159, v176, v159
	v_fmac_f16_e32 v179, 0x3a62, v139
	v_add_f16_e32 v155, v168, v155
	v_fmamk_f16 v168, v146, 0xbacd, v162
	v_mul_f16_sdwa v176, v146, v131 dst_sel:DWORD dst_unused:UNUSED_PAD src0_sel:WORD_1 src1_sel:DWORD
	v_pk_add_f16 v160, v174, v160
	v_mul_f16_sdwa v174, v144, v143 dst_sel:DWORD dst_unused:UNUSED_PAD src0_sel:WORD_1 src1_sel:DWORD
	v_add_f16_e32 v157, v178, v157
	v_add_f16_e32 v156, v179, v156
	;; [unrolled: 1-line block ×3, first 2 shown]
	v_fmamk_f16 v168, v144, 0xb836, v176
	v_fma_f16 v162, v146, 0xbacd, -v162
	v_fmamk_f16 v178, v146, 0x39e9, v174
	v_mul_f16_sdwa v179, v146, v125 dst_sel:DWORD dst_unused:UNUSED_PAD src0_sel:WORD_1 src1_sel:DWORD
	v_fmac_f16_e32 v176, 0x3836, v144
	v_add_f16_e32 v163, v168, v163
	v_add_f16_e32 v73, v162, v73
	v_add_f16_e32 v162, v178, v169
	v_fmamk_f16 v168, v144, 0xb964, v179
	v_mul_f16_sdwa v145, v144, v145 dst_sel:DWORD dst_unused:UNUSED_PAD src0_sel:WORD_1 src1_sel:DWORD
	v_mul_f16_sdwa v169, v146, v122 dst_sel:DWORD dst_unused:UNUSED_PAD src0_sel:WORD_1 src1_sel:DWORD
	v_fma_f16 v174, v146, 0x39e9, -v174
	v_add_f16_e32 v92, v176, v92
	v_add_f16_e32 v149, v168, v149
	v_fmamk_f16 v168, v146, 0x3722, v145
	v_fmamk_f16 v176, v144, 0x3b29, v169
	v_add_f16_e32 v150, v174, v150
	v_mul_f16_sdwa v174, v144, v140 dst_sel:DWORD dst_unused:UNUSED_PAD src0_sel:WORD_1 src1_sel:DWORD
	v_fmac_f16_e32 v169, 0xbb29, v144
	v_add_f16_e32 v164, v168, v164
	v_add_f16_e32 v168, v176, v175
	v_mul_f16_sdwa v178, v146, v142 dst_sel:DWORD dst_unused:UNUSED_PAD src0_sel:WORD_1 src1_sel:DWORD
	v_fmamk_f16 v175, v146, 0xbbdd, v174
	v_fma_f16 v145, v146, 0x3722, -v145
	v_mov_b32_e32 v176, 0x3bf7
	v_add_f16_e32 v152, v169, v152
	v_fmac_f16_e32 v179, 0x3964, v144
	v_add_f16_e32 v169, v175, v171
	v_fmamk_f16 v171, v144, 0x31e1, v178
	v_mul_f16_sdwa v175, v146, v135 dst_sel:DWORD dst_unused:UNUSED_PAD src0_sel:WORD_1 src1_sel:DWORD
	v_add_f16_e32 v145, v145, v170
	v_mul_f16_sdwa v170, v144, v176 dst_sel:DWORD dst_unused:UNUSED_PAD src0_sel:WORD_1 src1_sel:DWORD
	v_add_f16_e32 v151, v179, v151
	v_add_f16_e32 v167, v171, v167
	v_fmamk_f16 v171, v144, 0xbbf7, v175
	v_fma_f16 v174, v146, 0xbbdd, -v174
	v_fmamk_f16 v179, v146, 0x2de8, v170
	v_fmac_f16_e32 v178, 0xb1e1, v144
	v_fma_f16 v170, v146, 0x2de8, -v170
	v_add_f16_e32 v154, v171, v154
	v_pk_add_f16 v171, v59, v62 neg_lo:[0,1] neg_hi:[0,1]
	v_add_f16_e32 v161, v174, v161
	v_add_f16_e32 v153, v179, v153
	v_mul_f16_sdwa v174, v144, v172 dst_sel:DWORD dst_unused:UNUSED_PAD src0_sel:WORD_1 src1_sel:DWORD
	v_fmac_f16_e32 v175, 0x3bf7, v144
	v_mul_f16_sdwa v179, v146, v147 dst_sel:DWORD dst_unused:UNUSED_PAD src0_sel:WORD_1 src1_sel:DWORD
	v_pk_add_f16 v59, v62, v59
	v_pk_mul_f16 v62, 0xba62, v171 op_sel_hi:[0,1]
	v_add_f16_e32 v165, v178, v165
	v_fmamk_f16 v178, v146, 0x3b76, v174
	v_add_f16_e32 v159, v170, v159
	v_add_f16_e32 v148, v175, v148
	v_fmamk_f16 v170, v144, 0x35c8, v179
	v_pk_fma_f16 v175, 0xb8d2, v59, v62 op_sel:[0,0,1] op_sel_hi:[0,1,0]
	v_pk_fma_f16 v62, 0xb8d2, v59, v62 op_sel:[0,0,1] op_sel_hi:[0,1,0] neg_lo:[0,0,1] neg_hi:[0,0,1]
	v_mul_f16_sdwa v166, v171, v166 dst_sel:DWORD dst_unused:UNUSED_PAD src0_sel:WORD_1 src1_sel:DWORD
	v_fma_f16 v174, v146, 0x3b76, -v174
	v_fmac_f16_e32 v179, 0xb5c8, v144
	v_add_f16_e32 v157, v178, v157
	v_add_f16_e32 v158, v170, v158
	v_bfi_b32 v170, 0xffff, v175, v62
	v_fmamk_f16 v178, v59, 0xb461, v166
	v_add_f16_e32 v155, v174, v155
	v_mul_f16_sdwa v174, v59, v124 dst_sel:DWORD dst_unused:UNUSED_PAD src0_sel:WORD_1 src1_sel:DWORD
	v_add_f16_e32 v156, v179, v156
	v_fma_f16 v166, v59, 0xb461, -v166
	v_mul_f16_sdwa v179, v59, v147 dst_sel:DWORD dst_unused:UNUSED_PAD src0_sel:WORD_1 src1_sel:DWORD
	v_pk_add_f16 v160, v170, v160
	v_add_f16_e32 v71, v178, v71
	v_mul_f16_sdwa v170, v171, v172 dst_sel:DWORD dst_unused:UNUSED_PAD src0_sel:WORD_1 src1_sel:DWORD
	v_fmamk_f16 v178, v171, 0xbbb2, v174
	v_fmac_f16_e32 v174, 0x3bb2, v171
	v_add_f16_e32 v73, v166, v73
	v_fmamk_f16 v166, v171, 0x35c8, v179
	v_fmamk_f16 v180, v59, 0x3b76, v170
	v_fma_f16 v170, v59, 0x3b76, -v170
	v_add_f16_e32 v92, v174, v92
	v_mul_f16_sdwa v174, v171, v132 dst_sel:DWORD dst_unused:UNUSED_PAD src0_sel:WORD_1 src1_sel:DWORD
	v_add_f16_e32 v149, v166, v149
	v_mul_f16_sdwa v166, v59, v131 dst_sel:DWORD dst_unused:UNUSED_PAD src0_sel:WORD_1 src1_sel:DWORD
	v_add_f16_e32 v163, v178, v163
	v_add_f16_e32 v150, v170, v150
	v_fmamk_f16 v178, v59, 0xbacd, v174
	v_mul_f16_sdwa v170, v171, v176 dst_sel:DWORD dst_unused:UNUSED_PAD src0_sel:WORD_1 src1_sel:DWORD
	v_fmamk_f16 v176, v171, 0x3836, v166
	v_fma_f16 v174, v59, 0xbacd, -v174
	v_fmac_f16_e32 v166, 0xb836, v171
	v_add_f16_e32 v164, v178, v164
	v_fmamk_f16 v178, v59, 0x2de8, v170
	v_add_f16_e32 v168, v176, v168
	v_mul_f16_sdwa v176, v59, v135 dst_sel:DWORD dst_unused:UNUSED_PAD src0_sel:WORD_1 src1_sel:DWORD
	v_add_f16_e32 v145, v174, v145
	v_add_f16_e32 v152, v166, v152
	;; [unrolled: 1-line block ×3, first 2 shown]
	v_mul_f16_sdwa v174, v59, v125 dst_sel:DWORD dst_unused:UNUSED_PAD src0_sel:WORD_1 src1_sel:DWORD
	v_fmamk_f16 v169, v171, 0xbbf7, v176
	v_mul_f16_sdwa v137, v171, v137 dst_sel:DWORD dst_unused:UNUSED_PAD src0_sel:WORD_1 src1_sel:DWORD
	v_fma_f16 v170, v59, 0x2de8, -v170
	v_fmac_f16_e32 v176, 0x3bf7, v171
	v_fmac_f16_e32 v179, 0xb5c8, v171
	v_add_f16_e32 v167, v169, v167
	v_fmamk_f16 v169, v171, 0x3964, v174
	v_fmamk_f16 v178, v59, 0x39e9, v137
	v_add_f16_e32 v161, v170, v161
	v_mul_f16_sdwa v170, v171, v140 dst_sel:DWORD dst_unused:UNUSED_PAD src0_sel:WORD_1 src1_sel:DWORD
	v_fma_f16 v137, v59, 0x39e9, -v137
	v_add_f16_e32 v154, v169, v154
	v_pk_add_f16 v169, v60, v61 neg_lo:[0,1] neg_hi:[0,1]
	v_add_f16_e32 v153, v178, v153
	v_fmac_f16_e32 v174, 0xb964, v171
	v_mul_f16_sdwa v178, v59, v142 dst_sel:DWORD dst_unused:UNUSED_PAD src0_sel:WORD_1 src1_sel:DWORD
	v_pk_add_f16 v60, v61, v60
	v_pk_mul_f16 v61, 0xb836, v169 op_sel_hi:[0,1]
	v_add_f16_e32 v165, v176, v165
	v_fmamk_f16 v176, v59, 0xbbdd, v170
	v_add_f16_e32 v137, v137, v159
	v_add_f16_e32 v148, v174, v148
	v_fmamk_f16 v159, v171, 0x31e1, v178
	v_pk_fma_f16 v174, 0xbacd, v60, v61 op_sel:[0,0,1] op_sel_hi:[0,1,0]
	v_pk_fma_f16 v61, 0xbacd, v60, v61 op_sel:[0,0,1] op_sel_hi:[0,1,0] neg_lo:[0,0,1] neg_hi:[0,0,1]
	v_fma_f16 v170, v59, 0xbbdd, -v170
	v_mul_f16_sdwa v135, v60, v135 dst_sel:DWORD dst_unused:UNUSED_PAD src0_sel:WORD_1 src1_sel:DWORD
	v_add_f16_e32 v158, v159, v158
	v_fmac_f16_e32 v178, 0xb1e1, v171
	v_bfi_b32 v159, 0xffff, v174, v61
	v_add_f16_e32 v155, v170, v155
	v_mul_f16_sdwa v170, v60, v122 dst_sel:DWORD dst_unused:UNUSED_PAD src0_sel:WORD_1 src1_sel:DWORD
	v_mul_f16_sdwa v136, v169, v136 dst_sel:DWORD dst_unused:UNUSED_PAD src0_sel:WORD_1 src1_sel:DWORD
	v_add_f16_e32 v151, v179, v151
	v_pk_add_f16 v159, v159, v160
	v_add_f16_e32 v156, v178, v156
	v_fmamk_f16 v160, v169, 0xbb29, v170
	v_fmamk_f16 v178, v60, 0x2de8, v136
	v_fma_f16 v136, v60, 0x2de8, -v136
	v_add_f16_e32 v157, v176, v157
	v_mul_f16_sdwa v176, v169, v138 dst_sel:DWORD dst_unused:UNUSED_PAD src0_sel:WORD_1 src1_sel:DWORD
	v_add_f16_e32 v160, v160, v163
	v_fmamk_f16 v163, v169, 0x3bf7, v135
	v_fmac_f16_e32 v135, 0xbbf7, v169
	v_add_f16_e32 v136, v136, v150
	v_mul_f16_sdwa v150, v169, v172 dst_sel:DWORD dst_unused:UNUSED_PAD src0_sel:WORD_1 src1_sel:DWORD
	v_fmac_f16_e32 v170, 0x3b29, v169
	v_add_f16_e32 v149, v163, v149
	v_mul_f16_sdwa v163, v60, v128 dst_sel:DWORD dst_unused:UNUSED_PAD src0_sel:WORD_1 src1_sel:DWORD
	v_add_f16_e32 v135, v135, v151
	v_fmamk_f16 v172, v60, 0x3b76, v150
	v_fmamk_f16 v179, v60, 0x3722, v176
	v_fma_f16 v176, v60, 0x3722, -v176
	v_fmamk_f16 v151, v169, 0xba62, v163
	v_fmac_f16_e32 v163, 0x3a62, v169
	v_add_f16_e32 v92, v170, v92
	v_mul_f16_sdwa v170, v169, v177 dst_sel:DWORD dst_unused:UNUSED_PAD src0_sel:WORD_1 src1_sel:DWORD
	v_mul_f16_sdwa v142, v60, v142 dst_sel:DWORD dst_unused:UNUSED_PAD src0_sel:WORD_1 src1_sel:DWORD
	v_add_f16_e32 v151, v151, v168
	v_mul_f16_sdwa v168, v60, v147 dst_sel:DWORD dst_unused:UNUSED_PAD src0_sel:WORD_1 src1_sel:DWORD
	v_add_f16_e32 v152, v163, v152
	v_add_f16_e32 v163, v172, v166
	;; [unrolled: 1-line block ×3, first 2 shown]
	v_fmamk_f16 v176, v60, 0xb8d2, v170
	v_fmamk_f16 v166, v169, 0x35c8, v168
	v_fma_f16 v170, v60, 0xb8d2, -v170
	v_mul_f16_sdwa v140, v169, v140 dst_sel:DWORD dst_unused:UNUSED_PAD src0_sel:WORD_1 src1_sel:DWORD
	v_fma_f16 v150, v60, 0x3b76, -v150
	v_fmac_f16_e32 v168, 0xb5c8, v169
	v_add_f16_e32 v166, v166, v167
	v_fmamk_f16 v167, v169, 0x31e1, v142
	v_add_f16_e32 v145, v170, v145
	v_fmamk_f16 v170, v60, 0xbbdd, v140
	v_add_f16_e32 v150, v150, v161
	v_add_f16_e32 v161, v168, v165
	v_mul_f16_sdwa v165, v169, v143 dst_sel:DWORD dst_unused:UNUSED_PAD src0_sel:WORD_1 src1_sel:DWORD
	v_add_f16_e32 v154, v167, v154
	v_pk_add_f16 v167, v57, v58 neg_lo:[0,1] neg_hi:[0,1]
	v_add_f16_e32 v153, v170, v153
	v_fma_f16 v140, v60, 0xbbdd, -v140
	v_fmac_f16_e32 v142, 0xb1e1, v169
	v_fmamk_f16 v168, v60, 0x39e9, v165
	v_mul_f16_sdwa v170, v60, v125 dst_sel:DWORD dst_unused:UNUSED_PAD src0_sel:WORD_1 src1_sel:DWORD
	v_pk_add_f16 v57, v58, v57
	v_pk_mul_f16 v58, 0xb1e1, v167 op_sel_hi:[0,1]
	v_add_f16_e32 v137, v140, v137
	v_add_f16_e32 v140, v142, v148
	;; [unrolled: 1-line block ×3, first 2 shown]
	v_fmamk_f16 v148, v169, 0xb964, v170
	v_pk_fma_f16 v157, 0xbbdd, v57, v58 op_sel:[0,0,1] op_sel_hi:[0,1,0]
	v_pk_fma_f16 v58, 0xbbdd, v57, v58 op_sel:[0,0,1] op_sel_hi:[0,1,0] neg_lo:[0,0,1] neg_hi:[0,0,1]
	v_mul_f16_sdwa v147, v57, v147 dst_sel:DWORD dst_unused:UNUSED_PAD src0_sel:WORD_1 src1_sel:DWORD
	v_mul_f16_sdwa v131, v57, v131 dst_sel:DWORD dst_unused:UNUSED_PAD src0_sel:WORD_1 src1_sel:DWORD
	v_add_f16_e32 v148, v148, v158
	v_mul_f16_sdwa v168, v167, v173 dst_sel:DWORD dst_unused:UNUSED_PAD src0_sel:WORD_1 src1_sel:DWORD
	v_bfi_b32 v158, 0xffff, v157, v58
	v_fma_f16 v165, v60, 0x39e9, -v165
	v_mul_f16_sdwa v132, v167, v132 dst_sel:DWORD dst_unused:UNUSED_PAD src0_sel:WORD_1 src1_sel:DWORD
	v_mul_f16_sdwa v143, v167, v143 dst_sel:DWORD dst_unused:UNUSED_PAD src0_sel:WORD_1 src1_sel:DWORD
	;; [unrolled: 1-line block ×3, first 2 shown]
	v_pk_add_f16 v158, v158, v159
	v_fmamk_f16 v159, v167, 0xb5c8, v147
	v_fmac_f16_e32 v147, 0x35c8, v167
	v_add_f16_e32 v164, v176, v164
	v_fmamk_f16 v172, v57, 0x3b76, v168
	v_add_f16_e32 v155, v165, v155
	v_fma_f16 v165, v57, 0x3b76, -v168
	v_add_f16_e32 v92, v147, v92
	v_fmamk_f16 v147, v167, 0x3836, v131
	v_fmac_f16_e32 v131, 0xb836, v167
	v_fmamk_f16 v168, v57, 0xbacd, v132
	v_fma_f16 v132, v57, 0xbacd, -v132
	v_mul_f16_sdwa v129, v167, v129 dst_sel:DWORD dst_unused:UNUSED_PAD src0_sel:WORD_1 src1_sel:DWORD
	v_add_f16_e32 v147, v147, v149
	v_fmamk_f16 v149, v57, 0x39e9, v143
	v_add_f16_e32 v162, v180, v162
	v_add_f16_e32 v131, v131, v135
	v_fmamk_f16 v135, v167, 0xb964, v125
	v_mul_f16_sdwa v138, v167, v138 dst_sel:DWORD dst_unused:UNUSED_PAD src0_sel:WORD_1 src1_sel:DWORD
	v_add_f16_e32 v132, v132, v136
	v_add_f16_e32 v136, v149, v164
	v_fma_f16 v143, v57, 0x39e9, -v143
	v_fmamk_f16 v149, v57, 0xb8d2, v129
	v_mul_f16_sdwa v128, v57, v128 dst_sel:DWORD dst_unused:UNUSED_PAD src0_sel:WORD_1 src1_sel:DWORD
	v_add_f16_e32 v71, v179, v71
	v_add_f16_e32 v162, v178, v162
	;; [unrolled: 1-line block ×3, first 2 shown]
	v_fmamk_f16 v151, v57, 0x3722, v138
	v_fma_f16 v138, v57, 0x3722, -v138
	v_mul_f16_sdwa v123, v167, v123 dst_sel:DWORD dst_unused:UNUSED_PAD src0_sel:WORD_1 src1_sel:DWORD
	v_add_f16_e32 v143, v143, v145
	v_add_f16_e32 v145, v149, v163
	v_fmamk_f16 v149, v167, 0x3a62, v128
	v_add_f16_e32 v71, v172, v71
	v_add_f16_e32 v159, v159, v160
	;; [unrolled: 1-line block ×4, first 2 shown]
	v_fmamk_f16 v138, v57, 0xb461, v123
	v_fmac_f16_e32 v125, 0x3964, v167
	v_fma_f16 v129, v57, 0xb8d2, -v129
	v_mul_f16_sdwa v122, v57, v122 dst_sel:DWORD dst_unused:UNUSED_PAD src0_sel:WORD_1 src1_sel:DWORD
	v_add_f16_e32 v149, v149, v166
	v_mul_f16_sdwa v124, v57, v124 dst_sel:DWORD dst_unused:UNUSED_PAD src0_sel:WORD_1 src1_sel:DWORD
	v_pk_mul_f16 v121, 0xbbdd, v121 op_sel_hi:[0,1]
	v_add_f16_e32 v138, v138, v142
	v_pack_b32_f16 v142, v160, v147
	v_pack_b32_f16 v71, v71, v159
	s_barrier
	buffer_gl0_inv
	v_add_f16_e32 v125, v125, v152
	v_add_f16_e32 v129, v129, v150
	v_fmamk_f16 v150, v167, 0xbb29, v122
	v_fmac_f16_e32 v122, 0x3b29, v167
	v_fmamk_f16 v152, v167, 0x3bb2, v124
	v_pack_b32_f16 v145, v145, v149
	v_pk_fma_f16 v147, 0xb1e1, v120, v121 op_sel:[0,0,1] op_sel_hi:[0,1,0]
	v_pack_b32_f16 v135, v136, v135
	ds_write2_b32 v108, v126, v158 offset1:1
	ds_write2_b32 v108, v71, v142 offset0:2 offset1:3
	v_pk_mul_f16 v71, 0x3b76, v130 op_sel_hi:[0,1]
	v_add_f16_e32 v122, v122, v140
	v_add_f16_e32 v140, v152, v148
	v_alignbit_b32 v126, s0, v147, 16
	ds_write2_b32 v108, v135, v145 offset0:4 offset1:5
	v_pk_fma_f16 v120, 0xb1e1, v120, v121 op_sel:[0,0,1] op_sel_hi:[0,1,0] neg_lo:[0,1,0] neg_hi:[0,1,0]
	v_pk_fma_f16 v121, 0x35c8, v127, v71 op_sel:[0,0,1] op_sel_hi:[0,1,0]
	v_pk_mul_f16 v134, 0xbacd, v134 op_sel_hi:[0,1]
	v_alignbit_b32 v135, s0, v55, 16
	v_pack_b32_f16 v130, v138, v140
	v_pk_add_f16 v126, v55, v126
	v_pk_add_f16 v120, v55, v120 op_sel:[1,0] op_sel_hi:[0,1]
	v_alignbit_b32 v136, s0, v121, 16
	v_pk_fma_f16 v71, 0x35c8, v127, v71 op_sel:[0,0,1] op_sel_hi:[0,1,0] neg_lo:[0,1,0] neg_hi:[0,1,0]
	v_pk_fma_f16 v127, 0xb836, v133, v134 op_sel:[0,0,1] op_sel_hi:[0,1,0]
	v_pk_add_f16 v135, v135, v147
	v_pk_mul_f16 v138, 0x39e9, v141 op_sel_hi:[0,1]
	v_pk_add_f16 v126, v136, v126
	v_pk_add_f16 v71, v71, v120
	v_alignbit_b32 v120, s0, v127, 16
	v_pk_fma_f16 v133, 0xb836, v133, v134 op_sel:[0,0,1] op_sel_hi:[0,1,0] neg_lo:[0,1,0] neg_hi:[0,1,0]
	v_pk_fma_f16 v134, 0x3964, v139, v138 op_sel:[0,0,1] op_sel_hi:[0,1,0]
	v_pk_add_f16 v121, v121, v135
	v_pk_mul_f16 v135, 0xb8d2, v146 op_sel_hi:[0,1]
	v_bfi_b32 v56, 0xffff, v119, v56
	v_pk_add_f16 v120, v120, v126
	v_alignbit_b32 v126, s0, v134, 16
	v_pk_add_f16 v71, v133, v71
	v_pk_fma_f16 v136, 0xba62, v144, v135 op_sel:[0,0,1] op_sel_hi:[0,1,0]
	v_pk_add_f16 v55, v55, v56
	v_bfi_b32 v56, 0xffff, v70, v67
	v_pk_fma_f16 v133, 0x3964, v139, v138 op_sel:[0,0,1] op_sel_hi:[0,1,0] neg_lo:[0,1,0] neg_hi:[0,1,0]
	v_pk_add_f16 v121, v127, v121
	v_pk_add_f16 v120, v126, v120
	v_alignbit_b32 v126, s0, v136, 16
	v_pk_mul_f16 v59, 0x3722, v59 op_sel_hi:[0,1]
	v_pk_add_f16 v55, v56, v55
	v_bfi_b32 v56, 0xffff, v69, v68
	v_pk_add_f16 v71, v133, v71
	v_pk_fma_f16 v127, 0xba62, v144, v135 op_sel:[0,0,1] op_sel_hi:[0,1,0] neg_lo:[0,1,0] neg_hi:[0,1,0]
	v_pk_add_f16 v121, v134, v121
	v_pk_add_f16 v119, v126, v120
	v_pk_fma_f16 v120, 0x3b29, v171, v59 op_sel:[0,0,1] op_sel_hi:[0,1,0]
	v_pk_mul_f16 v60, 0xb461, v60 op_sel_hi:[0,1]
	v_pk_add_f16 v55, v56, v55
	v_bfi_b32 v56, 0xffff, v66, v63
	v_fma_f16 v123, v57, 0xb461, -v123
	v_pk_add_f16 v71, v127, v71
	v_pk_add_f16 v67, v136, v121
	v_alignbit_b32 v70, s0, v120, 16
	v_pk_fma_f16 v59, 0x3b29, v171, v59 op_sel:[0,0,1] op_sel_hi:[0,1,0] neg_lo:[0,1,0] neg_hi:[0,1,0]
	v_pk_fma_f16 v121, 0xbbb2, v169, v60 op_sel:[0,0,1] op_sel_hi:[0,1,0]
	v_pk_mul_f16 v57, 0x2de8, v57 op_sel_hi:[0,1]
	v_pk_add_f16 v55, v56, v55
	v_bfi_b32 v56, 0xffff, v65, v64
	v_pk_add_f16 v68, v70, v119
	v_pk_add_f16 v59, v59, v71
	v_alignbit_b32 v69, s0, v121, 16
	v_pk_add_f16 v63, v120, v67
	v_pk_fma_f16 v60, 0xbbb2, v169, v60 op_sel:[0,0,1] op_sel_hi:[0,1,0] neg_lo:[0,1,0] neg_hi:[0,1,0]
	v_pk_fma_f16 v67, 0x3bf7, v167, v57 op_sel:[0,0,1] op_sel_hi:[0,1,0]
	v_fmac_f16_e32 v170, 0x3964, v169
	v_pk_add_f16 v55, v56, v55
	v_bfi_b32 v56, 0xffff, v62, v175
	v_pk_add_f16 v66, v69, v68
	v_pk_add_f16 v59, v60, v59
	v_pk_fma_f16 v57, 0x3bf7, v167, v57 op_sel:[0,0,1] op_sel_hi:[0,1,0] neg_lo:[0,1,0] neg_hi:[0,1,0]
	v_pk_add_f16 v60, v121, v63
	v_alignbit_b32 v63, s0, v67, 16
	v_add_f16_e32 v156, v170, v156
	v_fmac_f16_e32 v124, 0xbbb2, v167
	v_fmac_f16_e32 v128, 0xba62, v167
	v_pk_add_f16 v55, v56, v55
	v_bfi_b32 v56, 0xffff, v61, v174
	v_add_f16_e32 v151, v151, v153
	v_add_f16_e32 v150, v150, v154
	v_pk_add_f16 v57, v57, v59
	v_pk_add_f16 v59, v67, v60
	;; [unrolled: 1-line block ×3, first 2 shown]
	v_add_f16_e32 v123, v123, v155
	v_add_f16_e32 v124, v124, v156
	;; [unrolled: 1-line block ×4, first 2 shown]
	v_pk_add_f16 v55, v56, v55
	v_bfi_b32 v56, 0xffff, v58, v157
	v_add_nc_u32_e32 v110, 0x88, v72
	v_add_nc_u32_e32 v109, 0xcc, v72
	;; [unrolled: 1-line block ×3, first 2 shown]
	v_pack_b32_f16 v138, v151, v150
	v_alignbit_b32 v59, v59, v57, 16
	v_pack_b32_f16 v57, v60, v57
	v_pack_b32_f16 v60, v137, v122
	;; [unrolled: 1-line block ×7, first 2 shown]
	v_pk_add_f16 v55, v56, v55
	ds_write2_b32 v108, v138, v130 offset0:6 offset1:7
	ds_write2_b32 v108, v57, v59 offset0:8 offset1:9
	;; [unrolled: 1-line block ×5, first 2 shown]
	ds_write_b32 v108, v55 offset:64
	s_and_saveexec_b32 s0, vcc_lo
	s_cbranch_execz .LBB0_13
; %bb.12:
	v_add_f16_e32 v56, v46, v45
	v_sub_f16_e32 v55, v49, v40
	v_sub_f16_e32 v59, v52, v41
	v_add_f16_sdwa v66, v101, v112 dst_sel:DWORD dst_unused:UNUSED_PAD src0_sel:WORD_1 src1_sel:DWORD
	v_sub_f16_e32 v58, v46, v95
	v_add_f16_e32 v56, v49, v56
	v_add_f16_e32 v67, v96, v114
	v_sub_f16_e32 v60, v50, v39
	v_add_f16_e32 v120, v95, v46
	v_sub_f16_e32 v46, v48, v43
	;; [unrolled: 2-line block ×3, first 2 shown]
	v_mul_f16_e32 v64, 0xbbdd, v66
	v_add_f16_e32 v119, v97, v117
	v_add_f16_e32 v70, v98, v116
	;; [unrolled: 1-line block ×5, first 2 shown]
	v_fmamk_f16 v127, v58, 0x31e1, v64
	v_sub_f16_sdwa v71, v112, v101 dst_sel:DWORD dst_unused:UNUSED_PAD src0_sel:DWORD src1_sel:WORD_1
	v_add_f16_e32 v63, v52, v62
	v_add_f16_e32 v62, v39, v50
	;; [unrolled: 1-line block ×3, first 2 shown]
	v_mul_f16_e32 v65, 0xbacd, v119
	v_add_f16_e32 v127, v113, v127
	v_add_f16_e32 v52, v47, v63
	;; [unrolled: 1-line block ×3, first 2 shown]
	v_mul_f16_e32 v63, 0x3b76, v67
	v_sub_f16_e32 v57, v51, v42
	v_add_f16_e32 v108, v99, v118
	v_add_f16_e32 v73, v48, v52
	v_mul_f16_e32 v52, 0x39e9, v70
	v_mul_f16_e32 v121, 0xb836, v71
	;; [unrolled: 1-line block ×4, first 2 shown]
	v_add_f16_e32 v73, v101, v73
	v_mul_f16_e32 v125, 0xbb29, v71
	v_fmamk_f16 v128, v60, 0x3836, v65
	v_sub_f16_e32 v69, v114, v96
	v_mul_f16_e32 v48, 0xb8d2, v108
	v_add_f16_e32 v73, v54, v73
	v_mul_f16_e32 v92, 0xb1e1, v71
	v_mul_f16_e32 v124, 0xbbf7, v71
	;; [unrolled: 1-line block ×4, first 2 shown]
	v_add_f16_e32 v43, v43, v73
	v_fmamk_f16 v73, v55, 0xb5c8, v63
	v_fmamk_f16 v129, v57, 0xb964, v52
	;; [unrolled: 1-line block ×4, first 2 shown]
	v_add_f16_e32 v43, v44, v43
	v_add_f16_e32 v73, v73, v127
	;; [unrolled: 1-line block ×3, first 2 shown]
	v_fmamk_f16 v130, v59, 0x3a62, v48
	v_fmamk_f16 v44, v120, 0xbbdd, v92
	v_add_f16_e32 v41, v41, v43
	v_fmamk_f16 v43, v120, 0xb461, v123
	v_add_f16_e32 v73, v128, v73
	v_fmamk_f16 v133, v120, 0x2de8, v124
	v_fmamk_f16 v134, v120, 0x3722, v125
	v_add_f16_e32 v41, v42, v41
	v_fmamk_f16 v42, v120, 0x39e9, v126
	v_fmamk_f16 v127, v120, 0x3b76, v71
	v_fma_f16 v92, v120, 0xbbdd, -v92
	v_add_f16_e32 v73, v129, v73
	v_add_f16_e32 v39, v39, v41
	v_fma_f16 v41, v120, 0xbacd, -v121
	v_fma_f16 v121, v120, 0xb8d2, -v122
	;; [unrolled: 1-line block ×4, first 2 shown]
	v_add_f16_e32 v39, v40, v39
	v_fma_f16 v40, v120, 0x2de8, -v124
	v_fma_f16 v124, v120, 0x39e9, -v126
	;; [unrolled: 1-line block ×3, first 2 shown]
	v_mul_f16_e32 v125, 0x35c8, v69
	v_add_f16_e32 v120, v45, v123
	v_sub_f16_e32 v123, v117, v97
	v_add_f16_e32 v44, v45, v44
	v_add_f16_e32 v128, v45, v132
	;; [unrolled: 1-line block ×5, first 2 shown]
	v_fmamk_f16 v41, v61, 0x3b76, v125
	v_add_f16_e32 v43, v130, v73
	v_mul_f16_e32 v73, 0xb836, v123
	v_sub_f16_e32 v137, v116, v98
	v_add_f16_e32 v68, v100, v111
	v_add_f16_e32 v41, v41, v44
	v_sub_f16_e32 v139, v118, v99
	v_fmamk_f16 v44, v62, 0xbacd, v73
	v_mul_f16_e32 v138, 0x3964, v137
	v_add_f16_e32 v126, v45, v131
	v_add_f16_e32 v131, v45, v133
	;; [unrolled: 1-line block ×7, first 2 shown]
	v_mul_f16_e32 v71, 0x3722, v68
	v_add_f16_e32 v124, v102, v115
	v_add_f16_e32 v41, v44, v41
	v_fmamk_f16 v44, v51, 0x39e9, v138
	v_mul_f16_e32 v140, 0xba62, v139
	v_add_f16_e32 v127, v45, v127
	v_add_f16_e32 v92, v45, v92
	;; [unrolled: 1-line block ×3, first 2 shown]
	v_fmamk_f16 v45, v56, 0xbb29, v71
	v_mul_f16_e32 v130, 0xb461, v124
	v_add_f16_e32 v41, v44, v41
	v_fmamk_f16 v44, v49, 0xb8d2, v140
	v_mul_f16_e32 v141, 0xbacd, v66
	v_add_f16_e32 v43, v45, v43
	;; [unrolled: 3-line block ×3, first 2 shown]
	v_fmamk_f16 v44, v58, 0x3836, v141
	v_sub_f16_e32 v143, v111, v100
	v_add_f16_e32 v43, v45, v43
	v_fmamk_f16 v45, v55, 0xbb29, v142
	v_mul_f16_e32 v145, 0x2de8, v119
	v_add_f16_e32 v44, v113, v44
	v_mul_f16_e32 v144, 0x3b29, v143
	v_add_f16_e32 v146, v103, v104
	v_sub_f16_e32 v148, v115, v102
	v_mul_f16_e32 v150, 0xb8d2, v70
	v_add_f16_e32 v44, v45, v44
	v_fmamk_f16 v45, v50, 0x3722, v144
	v_mul_f16_e32 v147, 0x2de8, v146
	v_mul_f16_e32 v149, 0xbbb2, v148
	;; [unrolled: 1-line block ×4, first 2 shown]
	v_add_f16_e32 v45, v45, v41
	v_fmamk_f16 v41, v60, 0x3bf7, v145
	v_sub_f16_e32 v153, v104, v103
	v_mul_f16_e32 v155, 0x39e9, v124
	v_mul_f16_e32 v156, 0x3b29, v69
	;; [unrolled: 1-line block ×3, first 2 shown]
	v_add_f16_e32 v121, v41, v44
	v_sub_f16_e32 v44, v101, v54
	v_mul_f16_e32 v154, 0x3bf7, v153
	v_mul_f16_e32 v176, 0xbacd, v67
	v_fmamk_f16 v161, v55, 0xbbb2, v160
	v_mul_f16_e32 v192, 0xbbdd, v67
	v_fmamk_f16 v41, v44, 0xbbf7, v147
	;; [unrolled: 2-line block ×4, first 2 shown]
	v_add_f16_e32 v41, v41, v43
	v_fmamk_f16 v43, v47, 0xb461, v149
	v_fmamk_f16 v209, v55, 0x3a62, v208
	;; [unrolled: 1-line block ×3, first 2 shown]
	v_add_f16_e32 v112, v112, v113
	v_fmac_f16_e32 v64, 0xb1e1, v58
	v_add_f16_e32 v43, v43, v45
	v_fmamk_f16 v45, v57, 0xba62, v150
	v_fmac_f16_e32 v63, 0x35c8, v55
	v_add_f16_e32 v112, v114, v112
	v_add_f16_e32 v64, v113, v64
	v_fmac_f16_e32 v65, 0xb836, v60
	v_add_f16_e32 v121, v45, v121
	v_add_f16_e32 v45, v54, v101
	v_fmamk_f16 v54, v59, 0x35c8, v151
	v_add_f16_e32 v112, v117, v112
	v_add_f16_e32 v63, v63, v64
	v_fmac_f16_e32 v52, 0x3964, v57
	v_fmac_f16_e32 v48, 0xba62, v59
	v_add_f16_e32 v54, v54, v121
	v_fmamk_f16 v121, v56, 0x31e1, v152
	v_add_f16_e32 v112, v116, v112
	v_add_f16_e32 v63, v65, v63
	v_fmac_f16_e32 v71, 0x3b29, v56
	v_add_f16_e32 v39, v95, v39
	v_add_f16_e32 v54, v121, v54
	v_fmamk_f16 v121, v45, 0x2de8, v154
	v_add_f16_e32 v112, v118, v112
	v_add_f16_e32 v52, v52, v63
	v_fma_f16 v63, v61, 0x3b76, -v125
	v_mul_f16_e32 v67, 0x39e9, v67
	v_add_f16_e32 v43, v121, v43
	v_fmamk_f16 v121, v46, 0xb964, v155
	v_add_f16_e32 v111, v111, v112
	v_add_f16_e32 v63, v63, v92
	;; [unrolled: 1-line block ×3, first 2 shown]
	v_fma_f16 v52, v62, 0xbacd, -v73
	v_add_f16_e32 v54, v121, v54
	v_fmamk_f16 v121, v61, 0x3722, v156
	v_add_f16_e32 v111, v115, v111
	v_add_f16_e32 v48, v71, v48
	;; [unrolled: 1-line block ×3, first 2 shown]
	v_fma_f16 v71, v50, 0x3722, -v144
	v_add_f16_e32 v121, v121, v126
	v_mul_f16_e32 v126, 0xbbf7, v123
	v_add_f16_e32 v104, v104, v111
	v_fma_f16 v92, v45, 0x2de8, -v154
	v_fmamk_f16 v239, v55, 0x3964, v67
	v_mul_f16_e32 v118, 0xbb29, v123
	v_fmamk_f16 v157, v62, 0x2de8, v126
	v_add_f16_e32 v103, v103, v104
	v_fma_f16 v73, v62, 0x2de8, -v126
	v_mul_f16_e32 v112, 0xbbf7, v137
	v_mul_f16_e32 v116, 0xbacd, v124
	v_add_f16_e32 v121, v157, v121
	v_mul_f16_e32 v157, 0x3a62, v137
	v_add_f16_e32 v102, v102, v103
	v_mul_f16_e32 v115, 0xbbb2, v139
	v_mul_f16_e32 v111, 0xbbdd, v146
	v_mul_f16_e32 v104, 0xba62, v143
	v_fmamk_f16 v158, v51, 0xb8d2, v157
	v_add_f16_e32 v100, v100, v102
	v_mul_f16_e32 v103, 0xb836, v148
	v_mul_f16_e32 v64, 0xb1e1, v153
	v_fmac_f16_e32 v141, 0xb836, v58
	v_add_f16_e32 v121, v158, v121
	v_mul_f16_e32 v158, 0xb8d2, v66
	v_add_f16_e32 v99, v99, v100
	v_fmamk_f16 v102, v45, 0xbbdd, v64
	v_fmac_f16_e32 v208, 0xba62, v55
	v_fmac_f16_e32 v67, 0xb964, v55
	v_fmamk_f16 v159, v58, 0x3a62, v158
	v_add_f16_e32 v65, v98, v99
	v_fmac_f16_e32 v158, 0xba62, v58
	v_fmac_f16_e32 v142, 0x3b29, v55
	;; [unrolled: 1-line block ×3, first 2 shown]
	v_add_f16_e32 v159, v113, v159
	v_add_f16_e32 v65, v97, v65
	v_fmac_f16_e32 v176, 0x3836, v55
	v_fmac_f16_e32 v192, 0xb1e1, v55
	;; [unrolled: 1-line block ×3, first 2 shown]
	v_add_f16_e32 v159, v161, v159
	v_mul_f16_e32 v161, 0xb5c8, v139
	v_add_f16_e32 v63, v96, v65
	v_fma_f16 v65, v51, 0x39e9, -v138
	v_fmac_f16_e32 v145, 0xbbf7, v60
	v_fmac_f16_e32 v150, 0x3a62, v57
	v_fmamk_f16 v162, v49, 0x3b76, v161
	v_add_f16_sdwa v63, v101, v63 dst_sel:DWORD dst_unused:UNUSED_PAD src0_sel:WORD_1 src1_sel:DWORD
	v_add_f16_e32 v52, v65, v52
	v_fma_f16 v65, v49, 0xb8d2, -v140
	v_fmac_f16_e32 v151, 0xb5c8, v59
	v_add_f16_e32 v121, v162, v121
	v_mul_f16_e32 v162, 0x3b76, v119
	v_fmac_f16_e32 v152, 0xb1e1, v56
	v_add_f16_e32 v52, v65, v52
	v_add_f16_e32 v65, v113, v141
	v_fmac_f16_e32 v130, 0xbbb2, v46
	v_fmamk_f16 v163, v60, 0x35c8, v162
	v_fmac_f16_e32 v162, 0xb5c8, v60
	v_add_f16_e32 v52, v71, v52
	v_fma_f16 v71, v47, 0xb461, -v149
	v_add_f16_e32 v65, v142, v65
	v_add_f16_e32 v159, v163, v159
	v_mul_f16_e32 v163, 0xb1e1, v143
	v_fmac_f16_e32 v155, 0x3964, v46
	v_add_f16_e32 v52, v71, v52
	v_fma_f16 v71, v61, 0x3722, -v156
	v_add_f16_e32 v65, v145, v65
	v_fmamk_f16 v164, v50, 0xbbdd, v163
	v_fmac_f16_e32 v147, 0x3bf7, v44
	v_add_f16_e32 v52, v92, v52
	v_add_f16_e32 v71, v71, v134
	v_fma_f16 v92, v49, 0x3b76, -v161
	v_add_f16_e32 v121, v164, v121
	v_mul_f16_e32 v164, 0xb461, v146
	v_add_f16_e32 v65, v150, v65
	v_add_f16_e32 v71, v73, v71
	v_fma_f16 v73, v51, 0xb8d2, -v157
	v_add_f16_e32 v48, v130, v48
	v_fmamk_f16 v165, v44, 0x3bb2, v164
	v_add_f16_e32 v65, v151, v65
	v_fmac_f16_e32 v164, 0xbbb2, v44
	v_add_f16_e32 v71, v73, v71
	v_add_f16_e32 v73, v113, v158
	v_add_f16_e32 v54, v165, v54
	v_mul_f16_e32 v165, 0xbacd, v70
	v_add_f16_e32 v65, v152, v65
	v_add_f16_e32 v71, v92, v71
	v_fma_f16 v92, v50, 0xbbdd, -v163
	v_add_f16_e32 v73, v160, v73
	v_fmamk_f16 v166, v57, 0x3836, v165
	v_fmac_f16_e32 v165, 0xb836, v57
	v_add_f16_e32 v65, v155, v65
	v_add_f16_e32 v71, v92, v71
	;; [unrolled: 1-line block ×4, first 2 shown]
	v_mul_f16_e32 v166, 0x3964, v148
	v_add_f16_e32 v48, v147, v48
	v_pack_b32_f16 v39, v39, v63
	v_add_f16_e32 v73, v165, v73
	v_add_f16_e32 v65, v164, v65
	v_fmamk_f16 v167, v47, 0x39e9, v166
	v_fma_f16 v92, v47, 0x39e9, -v166
	v_pack_b32_f16 v41, v43, v41
	v_add_f16_e32 v121, v167, v121
	v_mul_f16_e32 v167, 0x2de8, v108
	v_add_f16_e32 v71, v92, v71
	v_fmamk_f16 v168, v59, 0xbbf7, v167
	v_fmac_f16_e32 v167, 0x3bf7, v59
	v_add_f16_e32 v159, v168, v159
	v_mul_f16_e32 v168, 0x39e9, v68
	v_add_f16_e32 v73, v167, v73
	v_fmamk_f16 v169, v56, 0x3964, v168
	v_fmac_f16_e32 v168, 0xb964, v56
	v_add_f16_e32 v159, v169, v159
	v_mul_f16_e32 v169, 0xbbb2, v153
	v_add_f16_e32 v73, v168, v73
	v_fmamk_f16 v170, v45, 0xb461, v169
	v_add_f16_e32 v121, v170, v121
	v_mul_f16_e32 v170, 0xbbdd, v124
	v_pack_b32_f16 v54, v121, v54
	v_fmamk_f16 v171, v46, 0x31e1, v170
	v_fmac_f16_e32 v170, 0xb1e1, v46
	v_add_f16_e32 v159, v171, v159
	v_mul_f16_e32 v171, 0x3bb2, v69
	v_add_f16_e32 v73, v170, v73
	v_fmamk_f16 v172, v61, 0xb461, v171
	v_fma_f16 v92, v61, 0xb461, -v171
	v_add_f16_e32 v128, v172, v128
	v_mul_f16_e32 v172, 0xb5c8, v123
	v_add_f16_e32 v92, v92, v135
	v_fmamk_f16 v173, v62, 0x3b76, v172
	v_fma_f16 v95, v62, 0x3b76, -v172
	v_add_f16_e32 v128, v173, v128
	v_mul_f16_e32 v173, 0xb836, v137
	v_add_f16_e32 v92, v95, v92
	v_fma_f16 v95, v45, 0xb461, -v169
	v_fmamk_f16 v174, v51, 0xbacd, v173
	v_add_f16_e32 v71, v95, v71
	v_fma_f16 v95, v51, 0xbacd, -v173
	v_add_f16_e32 v128, v174, v128
	v_mul_f16_e32 v174, 0xb461, v66
	v_add_f16_e32 v92, v95, v92
	v_fmamk_f16 v175, v58, 0x3bb2, v174
	v_fmac_f16_e32 v174, 0xbbb2, v58
	v_add_f16_e32 v175, v113, v175
	v_add_f16_e32 v95, v113, v174
	;; [unrolled: 1-line block ×3, first 2 shown]
	v_mul_f16_e32 v177, 0x3bf7, v139
	v_add_f16_e32 v95, v176, v95
	v_fmamk_f16 v178, v49, 0x2de8, v177
	v_fma_f16 v96, v49, 0x2de8, -v177
	v_add_f16_e32 v128, v178, v128
	v_mul_f16_e32 v178, 0x39e9, v119
	v_add_f16_e32 v92, v96, v92
	v_fmamk_f16 v179, v60, 0xb964, v178
	v_fmac_f16_e32 v178, 0x3964, v60
	v_add_f16_e32 v175, v179, v175
	v_mul_f16_e32 v179, 0xb964, v143
	v_add_f16_e32 v95, v178, v95
	v_fmamk_f16 v180, v50, 0x39e9, v179
	v_fma_f16 v96, v50, 0x39e9, -v179
	v_add_f16_e32 v128, v180, v128
	v_mul_f16_e32 v180, 0x3722, v146
	v_add_f16_e32 v92, v96, v92
	v_fmamk_f16 v181, v44, 0xbb29, v180
	v_fmac_f16_e32 v180, 0x3b29, v44
	v_add_f16_e32 v159, v181, v159
	v_mul_f16_e32 v181, 0x3722, v70
	v_add_f16_e32 v73, v180, v73
	v_fmamk_f16 v182, v57, 0x3b29, v181
	v_fmac_f16_e32 v181, 0xbb29, v57
	v_add_f16_e32 v175, v182, v175
	v_mul_f16_e32 v182, 0xb1e1, v148
	v_add_f16_e32 v95, v181, v95
	v_fmamk_f16 v183, v47, 0xbbdd, v182
	v_fma_f16 v97, v47, 0xbbdd, -v182
	v_add_f16_e32 v128, v183, v128
	v_mul_f16_e32 v183, 0xbbdd, v108
	v_add_f16_e32 v92, v97, v92
	v_fmamk_f16 v184, v59, 0x31e1, v183
	v_fmac_f16_e32 v183, 0xb1e1, v59
	v_add_f16_e32 v175, v184, v175
	v_mul_f16_e32 v184, 0x2de8, v68
	v_add_f16_e32 v95, v183, v95
	v_fmamk_f16 v185, v56, 0xbbf7, v184
	v_fmac_f16_e32 v184, 0x3bf7, v56
	v_add_f16_e32 v175, v185, v175
	v_mul_f16_e32 v185, 0x3b29, v153
	v_add_f16_e32 v95, v184, v95
	v_fmamk_f16 v186, v45, 0x3722, v185
	v_add_f16_e32 v128, v186, v128
	v_mul_f16_e32 v186, 0x3b76, v124
	v_fmamk_f16 v187, v46, 0x35c8, v186
	v_fmac_f16_e32 v186, 0xb5c8, v46
	v_add_f16_e32 v175, v187, v175
	v_mul_f16_e32 v187, 0x3836, v69
	v_add_f16_e32 v95, v186, v95
	v_fmamk_f16 v188, v61, 0xbacd, v187
	v_fma_f16 v96, v61, 0xbacd, -v187
	v_add_f16_e32 v129, v188, v129
	v_mul_f16_e32 v188, 0x3964, v123
	v_add_f16_e32 v96, v96, v136
	v_fmamk_f16 v189, v62, 0x39e9, v188
	v_fma_f16 v97, v62, 0x39e9, -v188
	;; [unrolled: 5-line block ×3, first 2 shown]
	v_add_f16_e32 v129, v190, v129
	v_mul_f16_e32 v190, 0x2de8, v66
	v_add_f16_e32 v96, v97, v96
	v_fma_f16 v97, v45, 0x3722, -v185
	v_fmamk_f16 v191, v58, 0x3bf7, v190
	v_fmac_f16_e32 v190, 0xbbf7, v58
	v_add_f16_e32 v92, v97, v92
	v_add_f16_e32 v191, v113, v191
	v_pack_b32_f16 v43, v92, v73
	v_add_f16_e32 v191, v193, v191
	v_mul_f16_e32 v193, 0xb1e1, v139
	v_fmamk_f16 v194, v49, 0xbbdd, v193
	v_fma_f16 v97, v49, 0xbbdd, -v193
	v_add_f16_e32 v129, v194, v129
	v_mul_f16_e32 v194, 0xb461, v119
	v_add_f16_e32 v96, v97, v96
	v_add_f16_e32 v97, v113, v190
	v_fmamk_f16 v195, v60, 0xbbb2, v194
	v_fmac_f16_e32 v194, 0x3bb2, v60
	v_add_f16_e32 v97, v192, v97
	v_add_f16_e32 v191, v195, v191
	v_mul_f16_e32 v195, 0x3bf7, v143
	v_add_f16_e32 v97, v194, v97
	v_fmamk_f16 v196, v50, 0x2de8, v195
	v_fma_f16 v98, v50, 0x2de8, -v195
	v_add_f16_e32 v129, v196, v129
	v_mul_f16_e32 v196, 0xb8d2, v146
	v_add_f16_e32 v96, v98, v96
	v_fmamk_f16 v197, v44, 0x3a62, v196
	v_fmac_f16_e32 v196, 0xba62, v44
	v_add_f16_e32 v175, v197, v175
	v_mul_f16_e32 v197, 0x3b76, v70
	v_add_f16_e32 v95, v196, v95
	v_fmamk_f16 v198, v57, 0xb5c8, v197
	v_fmac_f16_e32 v197, 0x35c8, v57
	v_add_f16_e32 v191, v198, v191
	v_mul_f16_e32 v198, 0xb5c8, v148
	v_add_f16_e32 v97, v197, v97
	v_fmamk_f16 v199, v47, 0x3b76, v198
	v_fma_f16 v98, v47, 0x3b76, -v198
	v_add_f16_e32 v129, v199, v129
	v_mul_f16_e32 v199, 0x3722, v108
	v_add_f16_e32 v96, v98, v96
	v_fmamk_f16 v200, v59, 0x3b29, v199
	v_fmac_f16_e32 v199, 0xbb29, v59
	v_add_f16_e32 v191, v200, v191
	v_mul_f16_e32 v200, 0xbacd, v68
	v_add_f16_e32 v97, v199, v97
	v_fmamk_f16 v201, v56, 0x3836, v200
	v_fmac_f16_e32 v200, 0xb836, v56
	v_add_f16_e32 v191, v201, v191
	v_mul_f16_e32 v201, 0xba62, v153
	v_add_f16_e32 v97, v200, v97
	v_fmamk_f16 v202, v45, 0xb8d2, v201
	v_add_f16_e32 v129, v202, v129
	v_mul_f16_e32 v202, 0xb8d2, v124
	v_fmamk_f16 v203, v46, 0xba62, v202
	v_fmac_f16_e32 v202, 0x3a62, v46
	v_add_f16_e32 v191, v203, v191
	v_mul_f16_e32 v203, 0xb1e1, v69
	v_add_f16_e32 v97, v202, v97
	v_fmamk_f16 v204, v61, 0xbbdd, v203
	v_fma_f16 v98, v61, 0xbbdd, -v203
	v_add_f16_e32 v131, v204, v131
	v_mul_f16_e32 v204, 0x3bb2, v123
	v_add_f16_e32 v98, v98, v122
	v_fmamk_f16 v205, v62, 0xb461, v204
	v_fma_f16 v99, v62, 0xb461, -v204
	;; [unrolled: 5-line block ×3, first 2 shown]
	v_add_f16_e32 v131, v206, v131
	v_mul_f16_e32 v206, 0x3722, v66
	v_add_f16_e32 v98, v99, v98
	v_fmamk_f16 v207, v58, 0x3b29, v206
	v_fmac_f16_e32 v206, 0xbb29, v58
	v_add_f16_e32 v207, v113, v207
	v_add_f16_e32 v99, v113, v206
	;; [unrolled: 1-line block ×3, first 2 shown]
	v_mul_f16_e32 v209, 0xbb29, v139
	v_add_f16_e32 v99, v208, v99
	v_fmamk_f16 v210, v49, 0x3722, v209
	v_fma_f16 v100, v49, 0x3722, -v209
	v_add_f16_e32 v131, v210, v131
	v_mul_f16_e32 v210, 0xbbdd, v119
	v_add_f16_e32 v98, v100, v98
	v_fma_f16 v100, v45, 0xb8d2, -v201
	v_fmamk_f16 v211, v60, 0xb1e1, v210
	v_fmac_f16_e32 v210, 0x31e1, v60
	v_add_f16_e32 v96, v100, v96
	v_add_f16_e32 v207, v211, v207
	v_mul_f16_e32 v211, 0xb836, v143
	v_add_f16_e32 v99, v210, v99
	v_fmamk_f16 v212, v50, 0xbacd, v211
	v_fma_f16 v100, v50, 0xbacd, -v211
	v_add_f16_e32 v131, v212, v131
	v_mul_f16_e32 v212, 0x39e9, v146
	v_add_f16_e32 v98, v100, v98
	v_fmamk_f16 v213, v44, 0xb964, v212
	v_fmac_f16_e32 v212, 0x3964, v44
	v_add_f16_e32 v191, v213, v191
	v_mul_f16_e32 v213, 0xb461, v70
	v_add_f16_e32 v97, v212, v97
	v_fmamk_f16 v214, v57, 0xbbb2, v213
	v_fmac_f16_e32 v213, 0x3bb2, v57
	v_add_f16_e32 v207, v214, v207
	v_mul_f16_e32 v214, 0x3a62, v148
	v_add_f16_e32 v99, v213, v99
	v_fmamk_f16 v215, v47, 0xb8d2, v214
	v_add_f16_e32 v131, v215, v131
	v_mul_f16_e32 v215, 0x39e9, v108
	v_fmamk_f16 v216, v59, 0xb964, v215
	v_fmac_f16_e32 v215, 0x3964, v59
	v_add_f16_e32 v207, v216, v207
	v_mul_f16_e32 v216, 0x3b76, v68
	v_add_f16_e32 v99, v215, v99
	v_fmamk_f16 v217, v56, 0x35c8, v216
	v_fmac_f16_e32 v216, 0xb5c8, v56
	v_add_f16_e32 v207, v217, v207
	v_mul_f16_e32 v217, 0x3964, v153
	v_add_f16_e32 v99, v216, v99
	v_fmamk_f16 v218, v45, 0x39e9, v217
	v_add_f16_e32 v131, v218, v131
	v_mul_f16_e32 v218, 0x2de8, v124
	v_fmamk_f16 v219, v46, 0x3bf7, v218
	v_fmac_f16_e32 v218, 0xbbf7, v46
	v_add_f16_e32 v207, v219, v207
	v_mul_f16_e32 v219, 0xba62, v69
	v_add_f16_e32 v99, v218, v99
	v_fmamk_f16 v220, v61, 0xb8d2, v219
	v_fma_f16 v100, v61, 0xb8d2, -v219
	v_add_f16_e32 v132, v220, v132
	v_mul_f16_e32 v220, 0x31e1, v123
	v_add_f16_e32 v100, v100, v120
	v_fmamk_f16 v221, v62, 0xbbdd, v220
	v_add_f16_e32 v132, v221, v132
	v_mul_f16_e32 v221, 0x3bb2, v137
	v_fmamk_f16 v222, v51, 0xb461, v221
	v_add_f16_e32 v132, v222, v132
	v_mul_f16_e32 v222, 0x39e9, v66
	v_mul_f16_e32 v66, 0x3b76, v66
	v_fmamk_f16 v223, v58, 0x3964, v222
	v_fmac_f16_e32 v222, 0xb964, v58
	v_add_f16_e32 v223, v113, v223
	v_add_f16_e32 v101, v113, v222
	;; [unrolled: 1-line block ×3, first 2 shown]
	v_mul_f16_e32 v225, 0x3964, v139
	v_add_f16_e32 v101, v224, v101
	v_fmamk_f16 v226, v49, 0x39e9, v225
	v_add_f16_e32 v132, v226, v132
	v_mul_f16_e32 v226, 0xb8d2, v119
	v_mul_f16_e32 v119, 0x3722, v119
	v_fmamk_f16 v227, v60, 0x3a62, v226
	v_fmac_f16_e32 v226, 0xba62, v60
	v_add_f16_e32 v223, v227, v223
	v_mul_f16_e32 v227, 0xb5c8, v143
	v_add_f16_e32 v101, v226, v101
	v_fmamk_f16 v228, v50, 0x3b76, v227
	v_add_f16_e32 v132, v228, v132
	v_mul_f16_e32 v228, 0xbacd, v146
	v_fmamk_f16 v229, v44, 0x3836, v228
	v_fmac_f16_e32 v228, 0xb836, v44
	v_add_f16_e32 v207, v229, v207
	v_mul_f16_e32 v229, 0xbbdd, v70
	v_mul_f16_e32 v70, 0x2de8, v70
	v_add_f16_e32 v55, v228, v99
	v_fmamk_f16 v230, v57, 0x31e1, v229
	v_fmac_f16_e32 v229, 0xb1e1, v57
	v_add_f16_e32 v223, v230, v223
	v_mul_f16_e32 v230, 0xbbf7, v148
	v_add_f16_e32 v101, v229, v101
	v_fmamk_f16 v231, v47, 0x2de8, v230
	v_add_f16_e32 v132, v231, v132
	v_mul_f16_e32 v231, 0xbacd, v108
	v_mul_f16_e32 v108, 0xb461, v108
	v_fmamk_f16 v232, v59, 0xb836, v231
	v_fmac_f16_e32 v231, 0x3836, v59
	v_add_f16_e32 v223, v232, v223
	v_mul_f16_e32 v232, 0xb461, v68
	v_mul_f16_e32 v68, 0xb8d2, v68
	v_add_f16_e32 v101, v231, v101
	v_fmamk_f16 v233, v56, 0xbbb2, v232
	v_fmamk_f16 v114, v56, 0x3a62, v68
	v_fmac_f16_e32 v68, 0xba62, v56
	v_fmac_f16_e32 v232, 0x3bb2, v56
	v_add_f16_e32 v223, v233, v223
	v_mul_f16_e32 v233, 0xb836, v153
	v_fmamk_f16 v234, v45, 0xbacd, v233
	v_add_f16_e32 v132, v234, v132
	v_mul_f16_e32 v234, 0x3722, v124
	v_fmamk_f16 v124, v46, 0x3836, v116
	v_fmac_f16_e32 v116, 0xb836, v46
	v_fmamk_f16 v235, v46, 0xbb29, v234
	v_fmac_f16_e32 v234, 0x3b29, v46
	v_fma_f16 v46, v50, 0xb8d2, -v104
	v_add_f16_e32 v223, v235, v223
	v_mul_f16_e32 v235, 0xbbf7, v69
	v_mul_f16_e32 v69, 0xb964, v69
	v_fmamk_f16 v236, v61, 0x2de8, v235
	v_fmamk_f16 v117, v61, 0x39e9, v69
	v_add_f16_e32 v133, v236, v133
	v_mul_f16_e32 v236, 0xba62, v123
	v_add_f16_e32 v117, v117, v127
	v_fmamk_f16 v123, v62, 0x3722, v118
	v_fmamk_f16 v237, v62, 0xb8d2, v236
	v_add_f16_e32 v117, v123, v117
	v_fmamk_f16 v123, v51, 0x2de8, v112
	v_add_f16_e32 v133, v237, v133
	v_mul_f16_e32 v237, 0xb1e1, v137
	v_add_f16_e32 v117, v123, v117
	v_fmamk_f16 v123, v49, 0xb461, v115
	v_fmamk_f16 v238, v51, 0xbbdd, v237
	v_add_f16_e32 v117, v123, v117
	v_fmamk_f16 v123, v44, 0x31e1, v111
	v_add_f16_e32 v133, v238, v133
	v_fmamk_f16 v238, v58, 0x35c8, v66
	v_fmac_f16_e32 v66, 0xb5c8, v58
	v_add_f16_e32 v58, v232, v101
	v_fma_f16 v101, v47, 0x2de8, -v230
	v_fmac_f16_e32 v111, 0xb1e1, v44
	v_add_f16_e32 v238, v113, v238
	v_add_f16_e32 v66, v113, v66
	v_fma_f16 v113, v61, 0x2de8, -v235
	v_fma_f16 v61, v61, 0x39e9, -v69
	v_add_f16_e32 v58, v234, v58
	v_add_f16_e32 v238, v239, v238
	v_mul_f16_e32 v239, 0x3836, v139
	v_add_f16_e32 v42, v113, v42
	v_add_f16_e32 v66, v67, v66
	v_fma_f16 v67, v62, 0xb8d2, -v236
	v_add_f16_e32 v40, v61, v40
	v_fmamk_f16 v240, v49, 0xbacd, v239
	v_fma_f16 v61, v49, 0xbacd, -v239
	v_add_f16_e32 v42, v67, v42
	v_fma_f16 v67, v51, 0xbbdd, -v237
	v_add_f16_e32 v133, v240, v133
	v_fmamk_f16 v240, v60, 0x3b29, v119
	v_fmac_f16_e32 v119, 0xbb29, v60
	v_fma_f16 v60, v45, 0xbacd, -v233
	v_add_f16_e32 v42, v67, v42
	v_add_f16_e32 v238, v240, v238
	v_mul_f16_e32 v240, 0x3bb2, v143
	v_add_f16_e32 v66, v119, v66
	v_add_f16_e32 v42, v61, v42
	v_fmamk_f16 v241, v50, 0xb461, v240
	v_add_f16_e32 v133, v241, v133
	v_fmamk_f16 v241, v57, 0x3bf7, v70
	v_fmac_f16_e32 v70, 0xbbf7, v57
	v_fma_f16 v57, v62, 0x3722, -v118
	v_add_f16_e32 v238, v241, v238
	v_mul_f16_e32 v241, 0x3b29, v148
	v_add_f16_e32 v40, v57, v40
	v_fma_f16 v57, v50, 0xb461, -v240
	v_fmamk_f16 v242, v47, 0x3722, v241
	v_add_f16_e32 v42, v57, v42
	v_pack_b32_f16 v57, v129, v175
	v_add_f16_e32 v133, v242, v133
	v_fmamk_f16 v242, v59, 0x3bb2, v108
	v_fmac_f16_e32 v108, 0xbbb2, v59
	v_add_f16_e32 v238, v242, v238
	v_mul_f16_e32 v242, 0x3b76, v146
	v_add_f16_e32 v114, v114, v238
	v_fmamk_f16 v243, v44, 0xb5c8, v242
	v_fmac_f16_e32 v242, 0x35c8, v44
	v_fma_f16 v44, v47, 0xbacd, -v103
	v_add_f16_e32 v114, v124, v114
	v_add_f16_e32 v223, v243, v223
	v_mul_f16_e32 v243, 0x35c8, v153
	v_add_f16_e32 v114, v123, v114
	v_fmamk_f16 v123, v50, 0xb8d2, v104
	v_fmamk_f16 v244, v45, 0x3b76, v243
	v_add_f16_e32 v117, v123, v117
	v_fmamk_f16 v123, v47, 0xbacd, v103
	v_add_f16_e32 v133, v244, v133
	v_add_f16_e32 v117, v123, v117
	;; [unrolled: 1-line block ×3, first 2 shown]
	v_fma_f16 v117, v47, 0xb8d2, -v214
	v_add_f16_e32 v98, v117, v98
	v_fma_f16 v117, v62, 0xbbdd, -v220
	v_add_f16_e32 v62, v70, v66
	v_add_f16_e32 v100, v117, v100
	v_fma_f16 v117, v51, 0xb461, -v221
	v_fma_f16 v51, v51, 0x2de8, -v112
	v_add_f16_e32 v59, v108, v62
	v_add_f16_e32 v100, v117, v100
	v_fma_f16 v117, v49, 0x39e9, -v225
	v_add_f16_e32 v40, v51, v40
	v_fma_f16 v49, v49, 0xb461, -v115
	v_fma_f16 v51, v47, 0x3722, -v241
	v_add_f16_e32 v56, v68, v59
	v_add_f16_e32 v100, v117, v100
	v_fma_f16 v117, v45, 0x39e9, -v217
	v_add_f16_e32 v40, v49, v40
	v_add_f16_e32 v42, v51, v42
	v_fma_f16 v49, v45, 0x3b76, -v243
	v_pack_b32_f16 v51, v132, v207
	v_add_f16_e32 v98, v117, v98
	v_fma_f16 v117, v50, 0x3b76, -v227
	v_add_f16_e32 v40, v46, v40
	v_add_f16_e32 v50, v116, v56
	;; [unrolled: 1-line block ×3, first 2 shown]
	v_pack_b32_f16 v56, v133, v223
	v_add_f16_e32 v100, v117, v100
	v_add_f16_e32 v40, v44, v40
	v_fma_f16 v44, v45, 0xbbdd, -v64
	v_add_f16_e32 v49, v111, v50
	v_lshl_add_u32 v45, v94, 2, v245
	v_add_f16_e32 v99, v101, v100
	v_pack_b32_f16 v50, v102, v114
	v_add_f16_e32 v47, v242, v58
	v_pack_b32_f16 v58, v131, v191
	v_pack_b32_f16 v59, v128, v159
	v_add_f16_e32 v46, v60, v99
	v_add_f16_e32 v40, v44, v40
	ds_write2_b32 v45, v39, v50 offset1:1
	ds_write2_b32 v45, v56, v51 offset0:2 offset1:3
	ds_write2_b32 v45, v58, v57 offset0:4 offset1:5
	;; [unrolled: 1-line block ×3, first 2 shown]
	v_pack_b32_f16 v39, v52, v48
	v_pack_b32_f16 v44, v71, v65
	;; [unrolled: 1-line block ×7, first 2 shown]
	ds_write2_b32 v45, v41, v39 offset0:8 offset1:9
	ds_write2_b32 v45, v44, v43 offset0:10 offset1:11
	ds_write2_b32 v45, v50, v48 offset0:12 offset1:13
	ds_write2_b32 v45, v46, v42 offset0:14 offset1:15
	ds_write_b32 v45, v40 offset:64
.LBB0_13:
	s_or_b32 exec_lo, exec_lo, s0
	s_waitcnt lgkmcnt(0)
	s_barrier
	buffer_gl0_inv
	ds_read2_b32 v[41:42], v72 offset1:17
	ds_read2_b32 v[39:40], v72 offset0:68 offset1:85
	ds_read2_b32 v[51:52], v72 offset0:170 offset1:187
	v_add_nc_u32_e32 v45, 0x400, v72
	ds_read2_b32 v[54:55], v72 offset0:238 offset1:255
	ds_read2_b32 v[56:57], v72 offset0:102 offset1:119
	;; [unrolled: 1-line block ×9, first 2 shown]
	ds_read_b32 v70, v72 offset:1632
	s_waitcnt lgkmcnt(0)
	s_barrier
	buffer_gl0_inv
	s_mov_b32 s4, 0xace01346
	s_mov_b32 s5, 0x3f634679
	v_lshrrev_b32_e32 v92, 16, v55
	v_lshrrev_b32_e32 v94, 16, v56
	;; [unrolled: 1-line block ×3, first 2 shown]
	v_mul_f16_sdwa v120, v2, v55 dst_sel:DWORD dst_unused:UNUSED_PAD src0_sel:WORD_1 src1_sel:DWORD
	v_lshrrev_b32_e32 v71, 16, v40
	v_lshrrev_b32_e32 v73, 16, v51
	;; [unrolled: 1-line block ×3, first 2 shown]
	v_mul_f16_sdwa v118, v1, v51 dst_sel:DWORD dst_unused:UNUSED_PAD src0_sel:WORD_1 src1_sel:DWORD
	v_mul_f16_sdwa v119, v2, v92 dst_sel:DWORD dst_unused:UNUSED_PAD src0_sel:WORD_1 src1_sel:DWORD
	;; [unrolled: 1-line block ×4, first 2 shown]
	v_lshrrev_b32_e32 v97, 16, v60
	v_lshrrev_b32_e32 v98, 16, v59
	v_fmac_f16_e32 v119, v2, v55
	v_fmac_f16_e32 v112, v0, v40
	v_mul_f16_sdwa v40, v0, v40 dst_sel:DWORD dst_unused:UNUSED_PAD src0_sel:WORD_1 src1_sel:DWORD
	v_fmac_f16_e32 v117, v1, v51
	v_fma_f16 v51, v1, v73, -v118
	v_fma_f16 v55, v2, v92, -v120
	v_mul_f16_sdwa v73, v3, v58 dst_sel:DWORD dst_unused:UNUSED_PAD src0_sel:WORD_1 src1_sel:DWORD
	v_fma_f16 v40, v0, v71, -v40
	v_mul_f16_sdwa v71, v3, v96 dst_sel:DWORD dst_unused:UNUSED_PAD src0_sel:WORD_1 src1_sel:DWORD
	v_mul_f16_sdwa v92, v0, v94 dst_sel:DWORD dst_unused:UNUSED_PAD src0_sel:WORD_1 src1_sel:DWORD
	;; [unrolled: 1-line block ×4, first 2 shown]
	v_lshrrev_b32_e32 v99, 16, v57
	v_lshrrev_b32_e32 v100, 16, v62
	;; [unrolled: 1-line block ×3, first 2 shown]
	v_fmac_f16_e32 v71, v3, v58
	v_fma_f16 v58, v3, v96, -v73
	v_fmac_f16_e32 v92, v0, v56
	v_fma_f16 v56, v0, v94, -v118
	v_fmac_f16_e32 v120, v1, v52
	v_mul_f16_sdwa v0, v1, v52 dst_sel:DWORD dst_unused:UNUSED_PAD src0_sel:WORD_1 src1_sel:DWORD
	v_mul_f16_sdwa v52, v2, v97 dst_sel:DWORD dst_unused:UNUSED_PAD src0_sel:WORD_1 src1_sel:DWORD
	;; [unrolled: 1-line block ×5, first 2 shown]
	v_lshrrev_b32_e32 v102, 16, v64
	v_lshrrev_b32_e32 v103, 16, v66
	v_fma_f16 v95, v1, v95, -v0
	v_fmac_f16_e32 v52, v2, v60
	v_fma_f16 v60, v2, v97, -v73
	v_fmac_f16_e32 v94, v3, v59
	v_fma_f16 v59, v3, v98, -v96
	v_mul_f16_sdwa v73, v12, v99 dst_sel:DWORD dst_unused:UNUSED_PAD src0_sel:WORD_1 src1_sel:DWORD
	v_mul_f16_sdwa v0, v12, v57 dst_sel:DWORD dst_unused:UNUSED_PAD src0_sel:WORD_1 src1_sel:DWORD
	;; [unrolled: 1-line block ×5, first 2 shown]
	v_lshrrev_b32_e32 v104, 16, v63
	v_lshrrev_b32_e32 v108, 16, v68
	v_fmac_f16_e32 v73, v12, v57
	v_fma_f16 v12, v12, v99, -v0
	v_fmac_f16_e32 v96, v13, v62
	v_fma_f16 v13, v13, v100, -v1
	v_fmac_f16_e32 v97, v14, v61
	v_mul_f16_sdwa v0, v14, v61 dst_sel:DWORD dst_unused:UNUSED_PAD src0_sel:WORD_1 src1_sel:DWORD
	v_mul_f16_sdwa v57, v15, v102 dst_sel:DWORD dst_unused:UNUSED_PAD src0_sel:WORD_1 src1_sel:DWORD
	;; [unrolled: 1-line block ×4, first 2 shown]
	v_lshrrev_b32_e32 v111, 16, v65
	v_lshrrev_b32_e32 v113, 16, v67
	v_mul_f16_sdwa v2, v8, v66 dst_sel:DWORD dst_unused:UNUSED_PAD src0_sel:WORD_1 src1_sel:DWORD
	v_fma_f16 v14, v14, v101, -v0
	v_fmac_f16_e32 v57, v15, v64
	v_fma_f16 v15, v15, v102, -v1
	v_fmac_f16_e32 v61, v8, v66
	v_mul_f16_sdwa v64, v9, v104 dst_sel:DWORD dst_unused:UNUSED_PAD src0_sel:WORD_1 src1_sel:DWORD
	v_mul_f16_sdwa v0, v9, v63 dst_sel:DWORD dst_unused:UNUSED_PAD src0_sel:WORD_1 src1_sel:DWORD
	;; [unrolled: 1-line block ×4, first 2 shown]
	v_lshrrev_b32_e32 v114, 16, v54
	v_mul_f16_sdwa v98, v11, v111 dst_sel:DWORD dst_unused:UNUSED_PAD src0_sel:WORD_1 src1_sel:DWORD
	v_fmac_f16_e32 v64, v9, v63
	v_fma_f16 v63, v9, v104, -v0
	v_fmac_f16_e32 v66, v10, v68
	v_fma_f16 v68, v10, v108, -v1
	v_mul_f16_sdwa v0, v11, v65 dst_sel:DWORD dst_unused:UNUSED_PAD src0_sel:WORD_1 src1_sel:DWORD
	v_mul_f16_sdwa v9, v4, v113 dst_sel:DWORD dst_unused:UNUSED_PAD src0_sel:WORD_1 src1_sel:DWORD
	;; [unrolled: 1-line block ×3, first 2 shown]
	v_lshrrev_b32_e32 v115, 16, v69
	v_lshrrev_b32_e32 v116, 16, v70
	v_fma_f16 v62, v8, v103, -v2
	v_fmac_f16_e32 v98, v11, v65
	v_mul_f16_sdwa v8, v5, v114 dst_sel:DWORD dst_unused:UNUSED_PAD src0_sel:WORD_1 src1_sel:DWORD
	v_fma_f16 v65, v11, v111, -v0
	v_fmac_f16_e32 v9, v4, v67
	v_fma_f16 v1, v4, v113, -v1
	v_add_f16_e32 v0, v117, v119
	v_add_f16_e32 v4, v41, v112
	v_mul_f16_sdwa v2, v5, v54 dst_sel:DWORD dst_unused:UNUSED_PAD src0_sel:WORD_1 src1_sel:DWORD
	v_fmac_f16_e32 v8, v5, v54
	v_mul_f16_sdwa v10, v6, v115 dst_sel:DWORD dst_unused:UNUSED_PAD src0_sel:WORD_1 src1_sel:DWORD
	v_mul_f16_sdwa v3, v6, v69 dst_sel:DWORD dst_unused:UNUSED_PAD src0_sel:WORD_1 src1_sel:DWORD
	;; [unrolled: 1-line block ×3, first 2 shown]
	v_fma_f16 v0, -0.5, v0, v41
	v_sub_f16_e32 v67, v40, v58
	v_add_f16_e32 v4, v4, v117
	v_lshrrev_b32_e32 v50, 16, v41
	v_fma_f16 v2, v5, v114, -v2
	v_fmac_f16_e32 v10, v6, v69
	v_fma_f16 v5, v6, v115, -v3
	v_fmac_f16_e32 v54, v7, v70
	v_fmamk_f16 v3, v67, 0xbb9c, v0
	v_sub_f16_e32 v69, v51, v55
	v_sub_f16_e32 v6, v112, v117
	;; [unrolled: 1-line block ×3, first 2 shown]
	v_add_f16_e32 v99, v112, v71
	v_mul_f16_sdwa v70, v7, v70 dst_sel:DWORD dst_unused:UNUSED_PAD src0_sel:WORD_1 src1_sel:DWORD
	v_add_f16_e32 v100, v4, v119
	v_fmac_f16_e32 v0, 0x3b9c, v67
	v_fmac_f16_e32 v3, 0xb8b4, v69
	v_add_f16_e32 v101, v6, v11
	v_fma_f16 v4, -0.5, v99, v41
	v_fma_f16 v11, v7, v116, -v70
	v_add_f16_e32 v6, v100, v71
	v_sub_f16_e32 v41, v117, v112
	v_sub_f16_e32 v70, v119, v71
	v_fmac_f16_e32 v0, 0x38b4, v69
	v_add_f16_e32 v99, v50, v40
	v_add_f16_e32 v100, v51, v55
	v_fmac_f16_e32 v3, 0x34f2, v101
	v_fmamk_f16 v7, v69, 0x3b9c, v4
	v_add_f16_e32 v41, v41, v70
	v_fmac_f16_e32 v4, 0xbb9c, v69
	v_add_f16_e32 v69, v99, v51
	v_fma_f16 v70, -0.5, v100, v50
	v_sub_f16_e32 v71, v112, v71
	v_fmac_f16_e32 v0, 0x34f2, v101
	v_add_f16_e32 v99, v40, v58
	v_sub_f16_e32 v101, v40, v51
	v_sub_f16_e32 v40, v51, v40
	;; [unrolled: 1-line block ×3, first 2 shown]
	v_fmac_f16_e32 v7, 0xb8b4, v67
	v_fmac_f16_e32 v4, 0x38b4, v67
	v_add_f16_e32 v67, v69, v55
	v_fmamk_f16 v69, v71, 0x3b9c, v70
	v_sub_f16_e32 v100, v117, v119
	v_sub_f16_e32 v102, v58, v55
	v_fmac_f16_e32 v50, -0.5, v99
	v_fmac_f16_e32 v70, 0xbb9c, v71
	v_add_f16_e32 v55, v120, v52
	v_add_f16_e32 v40, v40, v51
	;; [unrolled: 1-line block ×3, first 2 shown]
	v_lshrrev_b32_e32 v49, 16, v42
	v_fmac_f16_e32 v7, 0x34f2, v41
	v_fmac_f16_e32 v4, 0x34f2, v41
	v_add_f16_e32 v41, v67, v58
	v_fmac_f16_e32 v69, 0x38b4, v100
	v_add_f16_e32 v67, v101, v102
	v_fmamk_f16 v99, v100, 0xbb9c, v50
	v_fmac_f16_e32 v70, 0xb8b4, v100
	v_fma_f16 v55, -0.5, v55, v42
	v_sub_f16_e32 v58, v56, v59
	v_fmac_f16_e32 v50, 0x3b9c, v100
	v_add_f16_e32 v51, v51, v120
	v_add_f16_e32 v103, v92, v94
	v_fmac_f16_e32 v69, 0x34f2, v67
	v_fmac_f16_e32 v99, 0x38b4, v71
	;; [unrolled: 1-line block ×3, first 2 shown]
	v_fmamk_f16 v67, v58, 0xbb9c, v55
	v_sub_f16_e32 v100, v95, v60
	v_sub_f16_e32 v101, v92, v120
	;; [unrolled: 1-line block ×3, first 2 shown]
	v_fmac_f16_e32 v50, 0xb8b4, v71
	v_add_f16_e32 v51, v51, v52
	v_fmac_f16_e32 v42, -0.5, v103
	v_fmac_f16_e32 v55, 0x3b9c, v58
	v_add_f16_e32 v103, v49, v56
	v_fmac_f16_e32 v99, 0x34f2, v40
	v_fmac_f16_e32 v67, 0xb8b4, v100
	v_add_f16_e32 v71, v101, v102
	v_fmac_f16_e32 v50, 0x34f2, v40
	v_add_f16_e32 v40, v51, v94
	v_fmamk_f16 v51, v100, 0x3b9c, v42
	v_sub_f16_e32 v101, v120, v92
	v_sub_f16_e32 v102, v52, v94
	v_fmac_f16_e32 v55, 0x38b4, v100
	v_add_f16_e32 v104, v95, v60
	v_fmac_f16_e32 v42, 0xbb9c, v100
	v_add_f16_e32 v100, v103, v95
	;; [unrolled: 2-line block ×3, first 2 shown]
	v_fma_f16 v102, -0.5, v104, v49
	v_sub_f16_e32 v92, v92, v94
	v_fmac_f16_e32 v42, 0x38b4, v58
	v_add_f16_e32 v58, v100, v60
	v_add_f16_e32 v94, v56, v59
	v_fmac_f16_e32 v67, 0x34f2, v71
	v_fmac_f16_e32 v55, 0x34f2, v71
	v_fmamk_f16 v71, v92, 0x3b9c, v102
	v_sub_f16_e32 v52, v120, v52
	v_sub_f16_e32 v100, v56, v95
	;; [unrolled: 1-line block ×3, first 2 shown]
	v_fmac_f16_e32 v49, -0.5, v94
	v_add_f16_e32 v58, v58, v59
	v_fmac_f16_e32 v102, 0xbb9c, v92
	v_sub_f16_e32 v56, v95, v56
	v_sub_f16_e32 v59, v60, v59
	v_add_f16_e32 v60, v96, v97
	v_lshrrev_b32_e32 v48, 16, v43
	v_fmac_f16_e32 v71, 0x38b4, v52
	v_add_f16_e32 v94, v100, v103
	v_fmamk_f16 v100, v52, 0xbb9c, v49
	v_fmac_f16_e32 v102, 0xb8b4, v52
	v_add_f16_e32 v56, v56, v59
	v_add_f16_e32 v59, v43, v73
	v_fma_f16 v60, -0.5, v60, v43
	v_sub_f16_e32 v95, v12, v15
	v_fmac_f16_e32 v49, 0x3b9c, v52
	v_add_f16_e32 v104, v73, v57
	v_fmac_f16_e32 v51, 0x34f2, v101
	v_fmac_f16_e32 v42, 0x34f2, v101
	;; [unrolled: 1-line block ×5, first 2 shown]
	v_add_f16_e32 v52, v59, v96
	v_fmamk_f16 v59, v95, 0xbb9c, v60
	v_sub_f16_e32 v94, v13, v14
	v_sub_f16_e32 v101, v73, v96
	;; [unrolled: 1-line block ×3, first 2 shown]
	v_fmac_f16_e32 v49, 0xb8b4, v92
	v_fma_f16 v43, -0.5, v104, v43
	v_fmac_f16_e32 v60, 0x3b9c, v95
	v_add_f16_e32 v104, v48, v12
	v_fmac_f16_e32 v100, 0x34f2, v56
	v_add_f16_e32 v52, v52, v97
	;; [unrolled: 2-line block ×3, first 2 shown]
	v_fmac_f16_e32 v49, 0x34f2, v56
	v_fmamk_f16 v56, v94, 0x3b9c, v43
	v_sub_f16_e32 v101, v96, v73
	v_sub_f16_e32 v103, v97, v57
	v_fmac_f16_e32 v60, 0x38b4, v94
	v_add_f16_e32 v108, v13, v14
	v_fmac_f16_e32 v43, 0xbb9c, v94
	v_add_f16_e32 v94, v104, v13
	v_add_f16_e32 v52, v52, v57
	v_fmac_f16_e32 v56, 0xb8b4, v95
	v_add_f16_e32 v101, v101, v103
	v_fma_f16 v103, -0.5, v108, v48
	v_sub_f16_e32 v57, v73, v57
	v_fmac_f16_e32 v43, 0x38b4, v95
	v_add_f16_e32 v73, v94, v14
	v_add_f16_e32 v94, v12, v15
	v_sub_f16_e32 v95, v96, v97
	v_sub_f16_e32 v96, v12, v13
	;; [unrolled: 1-line block ×4, first 2 shown]
	v_fmac_f16_e32 v59, 0x34f2, v92
	v_fmac_f16_e32 v60, 0x34f2, v92
	v_fmamk_f16 v92, v57, 0x3b9c, v103
	v_sub_f16_e32 v97, v15, v14
	v_fmac_f16_e32 v48, -0.5, v94
	v_fmac_f16_e32 v103, 0xbb9c, v57
	v_add_f16_e32 v14, v64, v66
	v_add_f16_e32 v12, v12, v13
	;; [unrolled: 1-line block ×3, first 2 shown]
	v_lshrrev_b32_e32 v47, 16, v44
	v_add_f16_e32 v73, v73, v15
	v_fmac_f16_e32 v92, 0x38b4, v95
	v_add_f16_e32 v94, v96, v97
	v_fmamk_f16 v96, v95, 0xbb9c, v48
	v_fmac_f16_e32 v103, 0xb8b4, v95
	v_fma_f16 v14, -0.5, v14, v44
	v_sub_f16_e32 v15, v62, v65
	v_fmac_f16_e32 v48, 0x3b9c, v95
	v_add_f16_e32 v13, v13, v64
	v_add_f16_e32 v104, v61, v98
	v_fmac_f16_e32 v56, 0x34f2, v101
	v_fmac_f16_e32 v43, 0x34f2, v101
	;; [unrolled: 1-line block ×5, first 2 shown]
	v_fmamk_f16 v94, v15, 0xbb9c, v14
	v_sub_f16_e32 v95, v63, v68
	v_sub_f16_e32 v97, v61, v64
	;; [unrolled: 1-line block ×3, first 2 shown]
	v_fmac_f16_e32 v48, 0xb8b4, v57
	v_add_f16_e32 v13, v13, v66
	v_fmac_f16_e32 v44, -0.5, v104
	v_fmac_f16_e32 v14, 0x3b9c, v15
	v_add_f16_e32 v104, v47, v62
	v_fmac_f16_e32 v96, 0x34f2, v12
	v_fmac_f16_e32 v94, 0xb8b4, v95
	v_add_f16_e32 v57, v97, v101
	v_fmac_f16_e32 v48, 0x34f2, v12
	v_add_f16_e32 v12, v13, v98
	v_fmamk_f16 v13, v95, 0x3b9c, v44
	v_sub_f16_e32 v97, v64, v61
	v_sub_f16_e32 v101, v66, v98
	v_fmac_f16_e32 v14, 0x38b4, v95
	v_add_f16_e32 v108, v63, v68
	v_fmac_f16_e32 v44, 0xbb9c, v95
	v_add_f16_e32 v95, v104, v63
	v_fmac_f16_e32 v13, 0xb8b4, v15
	v_add_f16_e32 v97, v97, v101
	v_fma_f16 v101, -0.5, v108, v47
	v_sub_f16_e32 v61, v61, v98
	v_fmac_f16_e32 v44, 0x38b4, v15
	v_add_f16_e32 v15, v95, v68
	v_add_f16_e32 v95, v62, v65
	v_fmac_f16_e32 v94, 0x34f2, v57
	v_fmac_f16_e32 v14, 0x34f2, v57
	v_fmamk_f16 v57, v61, 0x3b9c, v101
	v_sub_f16_e32 v64, v64, v66
	v_sub_f16_e32 v66, v62, v63
	v_sub_f16_e32 v98, v65, v68
	v_fmac_f16_e32 v47, -0.5, v95
	v_add_f16_e32 v15, v15, v65
	v_fmac_f16_e32 v101, 0xbb9c, v61
	v_sub_f16_e32 v62, v63, v62
	v_sub_f16_e32 v63, v68, v65
	v_add_f16_e32 v65, v8, v10
	v_fmac_f16_e32 v57, 0x38b4, v64
	v_add_f16_e32 v66, v66, v98
	v_fmamk_f16 v95, v64, 0xbb9c, v47
	v_fmac_f16_e32 v101, 0xb8b4, v64
	v_add_f16_e32 v62, v62, v63
	v_fmac_f16_e32 v47, 0x3b9c, v64
	v_add_f16_e32 v63, v39, v9
	v_fma_f16 v64, -0.5, v65, v39
	v_sub_f16_e32 v65, v1, v11
	v_fmac_f16_e32 v13, 0x34f2, v97
	v_fmac_f16_e32 v44, 0x34f2, v97
	;; [unrolled: 1-line block ×6, first 2 shown]
	v_add_f16_e32 v61, v63, v8
	v_fmamk_f16 v63, v65, 0xbb9c, v64
	v_sub_f16_e32 v66, v2, v5
	v_sub_f16_e32 v68, v9, v8
	;; [unrolled: 1-line block ×3, first 2 shown]
	v_fmac_f16_e32 v64, 0x3b9c, v65
	v_add_f16_e32 v98, v9, v54
	v_lshrrev_b32_e32 v46, 16, v39
	v_add_f16_e32 v61, v61, v10
	v_fmac_f16_e32 v63, 0xb8b4, v66
	v_add_f16_e32 v68, v68, v97
	v_fmac_f16_e32 v64, 0x38b4, v66
	v_fmac_f16_e32 v39, -0.5, v98
	v_sub_f16_e32 v97, v8, v9
	v_sub_f16_e32 v98, v10, v54
	v_fmac_f16_e32 v95, 0x34f2, v62
	v_fmac_f16_e32 v47, 0x34f2, v62
	v_add_f16_e32 v61, v61, v54
	v_fmac_f16_e32 v63, 0x34f2, v68
	v_fmac_f16_e32 v64, 0x34f2, v68
	v_fmamk_f16 v62, v66, 0x3b9c, v39
	v_add_f16_e32 v68, v2, v5
	v_fmac_f16_e32 v39, 0xbb9c, v66
	v_sub_f16_e32 v9, v9, v54
	v_add_f16_e32 v54, v97, v98
	v_add_f16_e32 v97, v1, v11
	;; [unrolled: 1-line block ×3, first 2 shown]
	v_fma_f16 v68, -0.5, v68, v46
	v_fmac_f16_e32 v62, 0xb8b4, v65
	v_fmac_f16_e32 v39, 0x38b4, v65
	v_sub_f16_e32 v8, v8, v10
	v_fmac_f16_e32 v46, -0.5, v97
	v_add_f16_e32 v65, v66, v2
	v_fmac_f16_e32 v62, 0x34f2, v54
	v_fmac_f16_e32 v39, 0x34f2, v54
	v_sub_f16_e32 v54, v1, v2
	v_fmamk_f16 v97, v8, 0xbb9c, v46
	v_sub_f16_e32 v1, v2, v1
	v_sub_f16_e32 v2, v5, v11
	v_fmac_f16_e32 v46, 0x3b9c, v8
	v_fmamk_f16 v66, v9, 0x3b9c, v68
	v_add_f16_e32 v10, v65, v5
	v_sub_f16_e32 v65, v11, v5
	v_fmac_f16_e32 v68, 0xbb9c, v9
	v_fmac_f16_e32 v97, 0x38b4, v9
	v_add_f16_e32 v1, v1, v2
	v_fmac_f16_e32 v46, 0xb8b4, v9
	v_fmac_f16_e32 v66, 0x38b4, v8
	v_add_f16_e32 v5, v54, v65
	v_fmac_f16_e32 v68, 0xb8b4, v8
	v_fmac_f16_e32 v97, 0x34f2, v1
	;; [unrolled: 1-line block ×3, first 2 shown]
	v_pack_b32_f16 v1, v6, v41
	v_pack_b32_f16 v3, v3, v69
	v_fmac_f16_e32 v66, 0x34f2, v5
	v_fmac_f16_e32 v68, 0x34f2, v5
	v_pack_b32_f16 v5, v7, v99
	v_pack_b32_f16 v4, v4, v50
	;; [unrolled: 1-line block ×6, first 2 shown]
	ds_write2_b32 v72, v1, v3 offset1:17
	ds_write2_b32 v72, v5, v4 offset0:34 offset1:51
	ds_write2_b32 v72, v0, v6 offset0:68 offset1:85
	;; [unrolled: 1-line block ×3, first 2 shown]
	v_pack_b32_f16 v0, v42, v49
	v_pack_b32_f16 v1, v55, v102
	;; [unrolled: 1-line block ×4, first 2 shown]
	v_add_f16_e32 v2, v10, v11
	v_pack_b32_f16 v5, v56, v96
	v_pack_b32_f16 v6, v43, v48
	;; [unrolled: 1-line block ×5, first 2 shown]
	v_add_nc_u32_e32 v10, 0x200, v105
	ds_write2_b32 v72, v0, v1 offset0:136 offset1:153
	ds_write2_b32 v106, v3, v4 offset0:170 offset1:187
	;; [unrolled: 1-line block ×3, first 2 shown]
	ds_write_b32 v106, v7 offset:952
	ds_write2_b32 v10, v8, v9 offset0:127 offset1:144
	v_pack_b32_f16 v0, v13, v95
	v_pack_b32_f16 v1, v44, v47
	v_add_nc_u32_e32 v3, 0x400, v105
	v_pack_b32_f16 v4, v14, v101
	v_pack_b32_f16 v2, v61, v2
	;; [unrolled: 1-line block ×3, first 2 shown]
	v_add_nc_u32_e32 v6, 0x400, v107
	v_pack_b32_f16 v7, v62, v97
	v_pack_b32_f16 v8, v39, v46
	;; [unrolled: 1-line block ×3, first 2 shown]
	ds_write2_b32 v3, v0, v1 offset0:33 offset1:50
	ds_write_b32 v105, v4 offset:1292
	ds_write2_b32 v6, v2, v5 offset0:84 offset1:101
	ds_write2_b32 v6, v7, v8 offset0:118 offset1:135
	ds_write_b32 v107, v9 offset:1632
	s_waitcnt lgkmcnt(0)
	s_barrier
	buffer_gl0_inv
	ds_read2_b32 v[2:3], v72 offset1:17
	ds_read2_b32 v[0:1], v72 offset0:68 offset1:85
	ds_read2_b32 v[11:12], v72 offset0:170 offset1:187
	;; [unrolled: 1-line block ×11, first 2 shown]
	ds_read_b32 v58, v72 offset:1632
	s_waitcnt lgkmcnt(12)
	v_lshrrev_b32_e32 v10, 16, v2
	s_waitcnt lgkmcnt(11)
	v_lshrrev_b32_e32 v13, 16, v1
	;; [unrolled: 2-line block ×6, first 2 shown]
	v_mul_f16_sdwa v71, v28, v13 dst_sel:DWORD dst_unused:UNUSED_PAD src0_sel:WORD_1 src1_sel:DWORD
	v_mul_f16_sdwa v96, v29, v52 dst_sel:DWORD dst_unused:UNUSED_PAD src0_sel:WORD_1 src1_sel:DWORD
	;; [unrolled: 1-line block ×5, first 2 shown]
	v_fmac_f16_e32 v71, v28, v1
	v_mul_f16_sdwa v1, v28, v1 dst_sel:DWORD dst_unused:UNUSED_PAD src0_sel:WORD_1 src1_sel:DWORD
	v_lshrrev_b32_e32 v60, 16, v12
	s_waitcnt lgkmcnt(6)
	v_lshrrev_b32_e32 v61, 16, v43
	v_lshrrev_b32_e32 v62, 16, v40
	v_fmac_f16_e32 v96, v29, v11
	v_fma_f16 v28, v28, v13, -v1
	v_fma_f16 v29, v29, v52, -v97
	v_fmac_f16_e32 v98, v30, v15
	v_fma_f16 v30, v30, v56, -v99
	v_mul_f16_sdwa v52, v31, v57 dst_sel:DWORD dst_unused:UNUSED_PAD src0_sel:WORD_1 src1_sel:DWORD
	v_mul_f16_sdwa v1, v31, v39 dst_sel:DWORD dst_unused:UNUSED_PAD src0_sel:WORD_1 src1_sel:DWORD
	v_mul_f16_sdwa v56, v32, v59 dst_sel:DWORD dst_unused:UNUSED_PAD src0_sel:WORD_1 src1_sel:DWORD
	v_mul_f16_sdwa v11, v32, v41 dst_sel:DWORD dst_unused:UNUSED_PAD src0_sel:WORD_1 src1_sel:DWORD
	v_lshrrev_b32_e32 v63, 16, v42
	s_waitcnt lgkmcnt(4)
	v_lshrrev_b32_e32 v64, 16, v46
	v_lshrrev_b32_e32 v65, 16, v44
	v_mul_f16_sdwa v97, v33, v60 dst_sel:DWORD dst_unused:UNUSED_PAD src0_sel:WORD_1 src1_sel:DWORD
	v_fmac_f16_e32 v52, v31, v39
	v_fma_f16 v31, v31, v57, -v1
	v_fmac_f16_e32 v56, v32, v41
	v_fma_f16 v32, v32, v59, -v11
	v_mul_f16_sdwa v1, v33, v12 dst_sel:DWORD dst_unused:UNUSED_PAD src0_sel:WORD_1 src1_sel:DWORD
	v_mul_f16_sdwa v39, v34, v61 dst_sel:DWORD dst_unused:UNUSED_PAD src0_sel:WORD_1 src1_sel:DWORD
	;; [unrolled: 1-line block ×4, first 2 shown]
	s_waitcnt lgkmcnt(3)
	v_lshrrev_b32_e32 v66, 16, v48
	s_waitcnt lgkmcnt(2)
	v_lshrrev_b32_e32 v67, 16, v50
	v_fmac_f16_e32 v97, v33, v12
	v_mul_f16_sdwa v12, v35, v40 dst_sel:DWORD dst_unused:UNUSED_PAD src0_sel:WORD_1 src1_sel:DWORD
	v_fma_f16 v33, v33, v60, -v1
	v_fmac_f16_e32 v39, v34, v43
	v_fma_f16 v34, v34, v61, -v11
	v_fmac_f16_e32 v41, v35, v40
	v_mul_f16_sdwa v40, v24, v63 dst_sel:DWORD dst_unused:UNUSED_PAD src0_sel:WORD_1 src1_sel:DWORD
	v_mul_f16_sdwa v1, v24, v42 dst_sel:DWORD dst_unused:UNUSED_PAD src0_sel:WORD_1 src1_sel:DWORD
	v_mul_f16_sdwa v43, v25, v64 dst_sel:DWORD dst_unused:UNUSED_PAD src0_sel:WORD_1 src1_sel:DWORD
	v_mul_f16_sdwa v11, v25, v46 dst_sel:DWORD dst_unused:UNUSED_PAD src0_sel:WORD_1 src1_sel:DWORD
	v_mul_f16_sdwa v57, v26, v65 dst_sel:DWORD dst_unused:UNUSED_PAD src0_sel:WORD_1 src1_sel:DWORD
	v_lshrrev_b32_e32 v68, 16, v47
	s_waitcnt lgkmcnt(1)
	v_lshrrev_b32_e32 v69, 16, v54
	v_lshrrev_b32_e32 v92, 16, v14
	v_fma_f16 v35, v35, v62, -v12
	v_fmac_f16_e32 v40, v24, v42
	v_fma_f16 v24, v24, v63, -v1
	v_fmac_f16_e32 v43, v25, v46
	;; [unrolled: 2-line block ×3, first 2 shown]
	v_mul_f16_sdwa v1, v26, v44 dst_sel:DWORD dst_unused:UNUSED_PAD src0_sel:WORD_1 src1_sel:DWORD
	v_mul_f16_sdwa v42, v27, v66 dst_sel:DWORD dst_unused:UNUSED_PAD src0_sel:WORD_1 src1_sel:DWORD
	;; [unrolled: 1-line block ×5, first 2 shown]
	v_lshrrev_b32_e32 v70, 16, v49
	v_lshrrev_b32_e32 v73, 16, v51
	;; [unrolled: 1-line block ×3, first 2 shown]
	s_waitcnt lgkmcnt(0)
	v_lshrrev_b32_e32 v95, 16, v58
	v_fma_f16 v26, v26, v65, -v1
	v_fmac_f16_e32 v42, v27, v48
	v_fma_f16 v27, v27, v66, -v11
	v_fmac_f16_e32 v44, v20, v50
	v_fma_f16 v46, v20, v67, -v12
	v_mul_f16_sdwa v48, v21, v68 dst_sel:DWORD dst_unused:UNUSED_PAD src0_sel:WORD_1 src1_sel:DWORD
	v_mul_f16_sdwa v1, v21, v47 dst_sel:DWORD dst_unused:UNUSED_PAD src0_sel:WORD_1 src1_sel:DWORD
	;; [unrolled: 1-line block ×7, first 2 shown]
	v_fmac_f16_e32 v48, v21, v47
	v_fma_f16 v21, v21, v68, -v1
	v_fmac_f16_e32 v50, v22, v54
	v_fma_f16 v22, v22, v69, -v11
	v_mul_f16_sdwa v1, v23, v49 dst_sel:DWORD dst_unused:UNUSED_PAD src0_sel:WORD_1 src1_sel:DWORD
	v_mul_f16_sdwa v15, v16, v73 dst_sel:DWORD dst_unused:UNUSED_PAD src0_sel:WORD_1 src1_sel:DWORD
	;; [unrolled: 1-line block ×3, first 2 shown]
	v_fmac_f16_e32 v13, v17, v14
	v_fma_f16 v12, v17, v92, -v12
	v_mul_f16_sdwa v17, v18, v94 dst_sel:DWORD dst_unused:UNUSED_PAD src0_sel:WORD_1 src1_sel:DWORD
	v_mul_f16_sdwa v14, v18, v55 dst_sel:DWORD dst_unused:UNUSED_PAD src0_sel:WORD_1 src1_sel:DWORD
	;; [unrolled: 1-line block ×3, first 2 shown]
	v_add_f16_e32 v20, v2, v71
	v_fmac_f16_e32 v59, v23, v49
	v_fma_f16 v23, v23, v70, -v1
	v_fmac_f16_e32 v15, v16, v51
	v_fma_f16 v11, v16, v73, -v11
	v_add_f16_e32 v1, v96, v98
	v_fmac_f16_e32 v17, v18, v55
	v_fma_f16 v16, v18, v94, -v14
	v_fmac_f16_e32 v47, v19, v58
	v_add_f16_e32 v18, v20, v96
	v_sub_f16_e32 v51, v71, v96
	v_sub_f16_e32 v54, v52, v98
	v_add_f16_e32 v55, v71, v52
	v_mul_f16_sdwa v58, v19, v58 dst_sel:DWORD dst_unused:UNUSED_PAD src0_sel:WORD_1 src1_sel:DWORD
	v_fma_f16 v1, -0.5, v1, v2
	v_sub_f16_e32 v49, v28, v31
	v_sub_f16_e32 v20, v29, v30
	v_add_f16_e32 v18, v18, v98
	v_add_f16_e32 v51, v51, v54
	v_fma_f16 v2, -0.5, v55, v2
	v_fma_f16 v54, v19, v95, -v58
	v_sub_f16_e32 v55, v96, v71
	v_sub_f16_e32 v58, v98, v52
	v_add_f16_e32 v60, v10, v28
	v_fmamk_f16 v14, v49, 0xbb9c, v1
	v_add_f16_e32 v19, v18, v52
	v_fmac_f16_e32 v1, 0x3b9c, v49
	v_fmamk_f16 v18, v20, 0x3b9c, v2
	v_add_f16_e32 v61, v29, v30
	v_add_f16_e32 v55, v55, v58
	v_fmac_f16_e32 v2, 0xbb9c, v20
	v_add_f16_e32 v58, v60, v29
	v_fmac_f16_e32 v14, 0xb8b4, v20
	v_fmac_f16_e32 v1, 0x38b4, v20
	;; [unrolled: 1-line block ×3, first 2 shown]
	v_fma_f16 v20, -0.5, v61, v10
	v_sub_f16_e32 v52, v71, v52
	v_fmac_f16_e32 v2, 0x38b4, v49
	v_add_f16_e32 v49, v58, v30
	v_add_f16_e32 v58, v28, v31
	v_sub_f16_e32 v61, v28, v29
	v_sub_f16_e32 v28, v29, v28
	;; [unrolled: 1-line block ×3, first 2 shown]
	v_fmac_f16_e32 v14, 0x34f2, v51
	v_fmac_f16_e32 v1, 0x34f2, v51
	v_fmamk_f16 v51, v52, 0x3b9c, v20
	v_sub_f16_e32 v60, v96, v98
	v_sub_f16_e32 v62, v31, v30
	v_fmac_f16_e32 v10, -0.5, v58
	v_fmac_f16_e32 v20, 0xbb9c, v52
	v_add_f16_e32 v30, v97, v39
	v_add_f16_e32 v28, v28, v29
	;; [unrolled: 1-line block ×3, first 2 shown]
	v_lshrrev_b32_e32 v9, 16, v3
	v_fmac_f16_e32 v18, 0x34f2, v55
	v_fmac_f16_e32 v2, 0x34f2, v55
	v_add_f16_e32 v49, v49, v31
	v_fmac_f16_e32 v51, 0x38b4, v60
	v_add_f16_e32 v55, v61, v62
	v_fmamk_f16 v58, v60, 0xbb9c, v10
	v_fmac_f16_e32 v20, 0xb8b4, v60
	v_fma_f16 v30, -0.5, v30, v3
	v_sub_f16_e32 v31, v32, v35
	v_fmac_f16_e32 v10, 0x3b9c, v60
	v_add_f16_e32 v29, v29, v97
	v_add_f16_e32 v63, v56, v41
	v_fmac_f16_e32 v51, 0x34f2, v55
	v_fmac_f16_e32 v58, 0x38b4, v52
	;; [unrolled: 1-line block ×3, first 2 shown]
	v_fmamk_f16 v55, v31, 0xbb9c, v30
	v_sub_f16_e32 v60, v33, v34
	v_sub_f16_e32 v61, v56, v97
	;; [unrolled: 1-line block ×3, first 2 shown]
	v_fmac_f16_e32 v10, 0xb8b4, v52
	v_add_f16_e32 v29, v29, v39
	v_fmac_f16_e32 v3, -0.5, v63
	v_fmac_f16_e32 v30, 0x3b9c, v31
	v_add_f16_e32 v63, v9, v32
	v_fmac_f16_e32 v58, 0x34f2, v28
	v_fmac_f16_e32 v55, 0xb8b4, v60
	v_add_f16_e32 v52, v61, v62
	v_fmac_f16_e32 v10, 0x34f2, v28
	v_add_f16_e32 v28, v29, v41
	v_fmamk_f16 v29, v60, 0x3b9c, v3
	v_sub_f16_e32 v61, v97, v56
	v_sub_f16_e32 v62, v39, v41
	v_fmac_f16_e32 v30, 0x38b4, v60
	v_add_f16_e32 v64, v33, v34
	v_fmac_f16_e32 v3, 0xbb9c, v60
	v_add_f16_e32 v60, v63, v33
	;; [unrolled: 2-line block ×3, first 2 shown]
	v_fma_f16 v62, -0.5, v64, v9
	v_sub_f16_e32 v41, v56, v41
	v_fmac_f16_e32 v3, 0x38b4, v31
	v_add_f16_e32 v31, v60, v34
	v_add_f16_e32 v56, v32, v35
	v_sub_f16_e32 v60, v32, v33
	v_sub_f16_e32 v32, v33, v32
	;; [unrolled: 1-line block ×3, first 2 shown]
	v_fmac_f16_e32 v55, 0x34f2, v52
	v_fmac_f16_e32 v30, 0x34f2, v52
	v_fmamk_f16 v52, v41, 0x3b9c, v62
	v_sub_f16_e32 v39, v97, v39
	v_sub_f16_e32 v63, v35, v34
	v_fmac_f16_e32 v9, -0.5, v56
	v_fmac_f16_e32 v62, 0xbb9c, v41
	v_add_f16_e32 v34, v43, v57
	v_add_f16_e32 v32, v32, v33
	;; [unrolled: 1-line block ×3, first 2 shown]
	v_lshrrev_b32_e32 v8, 16, v4
	v_add_f16_e32 v31, v31, v35
	v_fmac_f16_e32 v52, 0x38b4, v39
	v_add_f16_e32 v56, v60, v63
	v_fmamk_f16 v60, v39, 0xbb9c, v9
	v_fmac_f16_e32 v62, 0xb8b4, v39
	v_fma_f16 v34, -0.5, v34, v4
	v_sub_f16_e32 v35, v24, v27
	v_fmac_f16_e32 v9, 0x3b9c, v39
	v_add_f16_e32 v33, v33, v43
	v_add_f16_e32 v64, v40, v42
	v_fmac_f16_e32 v29, 0x34f2, v61
	v_fmac_f16_e32 v3, 0x34f2, v61
	;; [unrolled: 1-line block ×5, first 2 shown]
	v_fmamk_f16 v39, v35, 0xbb9c, v34
	v_sub_f16_e32 v56, v25, v26
	v_sub_f16_e32 v61, v40, v43
	;; [unrolled: 1-line block ×3, first 2 shown]
	v_fmac_f16_e32 v9, 0xb8b4, v41
	v_add_f16_e32 v33, v33, v57
	v_fma_f16 v4, -0.5, v64, v4
	v_fmac_f16_e32 v34, 0x3b9c, v35
	v_add_f16_e32 v64, v8, v24
	v_fmac_f16_e32 v60, 0x34f2, v32
	v_fmac_f16_e32 v39, 0xb8b4, v56
	v_add_f16_e32 v41, v61, v63
	v_fmac_f16_e32 v9, 0x34f2, v32
	v_add_f16_e32 v32, v33, v42
	v_fmamk_f16 v33, v56, 0x3b9c, v4
	v_sub_f16_e32 v61, v43, v40
	v_sub_f16_e32 v63, v57, v42
	v_fmac_f16_e32 v34, 0x38b4, v56
	v_add_f16_e32 v65, v25, v26
	v_fmac_f16_e32 v4, 0xbb9c, v56
	v_add_f16_e32 v56, v64, v25
	;; [unrolled: 2-line block ×3, first 2 shown]
	v_fma_f16 v63, -0.5, v65, v8
	v_sub_f16_e32 v40, v40, v42
	v_fmac_f16_e32 v4, 0x38b4, v35
	v_add_f16_e32 v35, v56, v26
	v_add_f16_e32 v42, v24, v27
	v_sub_f16_e32 v56, v24, v25
	v_sub_f16_e32 v24, v25, v24
	;; [unrolled: 1-line block ×3, first 2 shown]
	v_fmac_f16_e32 v39, 0x34f2, v41
	v_fmac_f16_e32 v34, 0x34f2, v41
	v_fmamk_f16 v41, v40, 0x3b9c, v63
	v_sub_f16_e32 v43, v43, v57
	v_sub_f16_e32 v57, v27, v26
	v_fmac_f16_e32 v8, -0.5, v42
	v_fmac_f16_e32 v63, 0xbb9c, v40
	v_add_f16_e32 v26, v48, v50
	v_add_f16_e32 v24, v24, v25
	;; [unrolled: 1-line block ×3, first 2 shown]
	v_lshrrev_b32_e32 v7, 16, v5
	v_add_f16_e32 v35, v35, v27
	v_fmac_f16_e32 v41, 0x38b4, v43
	v_add_f16_e32 v42, v56, v57
	v_fmamk_f16 v56, v43, 0xbb9c, v8
	v_fmac_f16_e32 v63, 0xb8b4, v43
	v_fma_f16 v26, -0.5, v26, v5
	v_sub_f16_e32 v27, v46, v23
	v_fmac_f16_e32 v8, 0x3b9c, v43
	v_add_f16_e32 v25, v25, v48
	v_add_f16_e32 v64, v44, v59
	v_fmac_f16_e32 v33, 0x34f2, v61
	v_fmac_f16_e32 v4, 0x34f2, v61
	;; [unrolled: 1-line block ×5, first 2 shown]
	v_fmamk_f16 v42, v27, 0xbb9c, v26
	v_sub_f16_e32 v43, v21, v22
	v_sub_f16_e32 v57, v44, v48
	;; [unrolled: 1-line block ×3, first 2 shown]
	v_fmac_f16_e32 v8, 0xb8b4, v40
	v_add_f16_e32 v25, v25, v50
	v_fmac_f16_e32 v5, -0.5, v64
	v_fmac_f16_e32 v26, 0x3b9c, v27
	v_add_f16_e32 v64, v7, v46
	v_fmac_f16_e32 v56, 0x34f2, v24
	v_fmac_f16_e32 v42, 0xb8b4, v43
	v_add_f16_e32 v40, v57, v61
	v_fmac_f16_e32 v8, 0x34f2, v24
	v_add_f16_e32 v24, v25, v59
	v_fmamk_f16 v25, v43, 0x3b9c, v5
	v_sub_f16_e32 v57, v48, v44
	v_sub_f16_e32 v61, v50, v59
	v_fmac_f16_e32 v26, 0x38b4, v43
	v_add_f16_e32 v65, v21, v22
	v_fmac_f16_e32 v5, 0xbb9c, v43
	v_add_f16_e32 v43, v64, v21
	;; [unrolled: 2-line block ×3, first 2 shown]
	v_fma_f16 v61, -0.5, v65, v7
	v_sub_f16_e32 v44, v44, v59
	v_fmac_f16_e32 v5, 0x38b4, v27
	v_add_f16_e32 v27, v43, v22
	v_add_f16_e32 v43, v46, v23
	v_fmac_f16_e32 v42, 0x34f2, v40
	v_fmac_f16_e32 v26, 0x34f2, v40
	v_fmamk_f16 v40, v44, 0x3b9c, v61
	v_sub_f16_e32 v48, v48, v50
	v_sub_f16_e32 v50, v46, v21
	;; [unrolled: 1-line block ×3, first 2 shown]
	v_fmac_f16_e32 v7, -0.5, v43
	v_add_f16_e32 v27, v27, v23
	v_fmac_f16_e32 v61, 0xbb9c, v44
	v_sub_f16_e32 v22, v22, v23
	v_add_f16_e32 v23, v13, v17
	v_fmac_f16_e32 v40, 0x38b4, v48
	v_add_f16_e32 v43, v50, v59
	v_fmamk_f16 v50, v48, 0xbb9c, v7
	v_sub_f16_e32 v21, v21, v46
	v_fmac_f16_e32 v61, 0xb8b4, v48
	v_fmac_f16_e32 v7, 0x3b9c, v48
	v_fma_f16 v23, -0.5, v23, v0
	v_sub_f16_e32 v46, v11, v54
	v_fmac_f16_e32 v25, 0x34f2, v57
	v_fmac_f16_e32 v5, 0x34f2, v57
	;; [unrolled: 1-line block ×4, first 2 shown]
	v_add_f16_e32 v21, v21, v22
	v_add_f16_e32 v22, v0, v15
	v_fmac_f16_e32 v61, 0x34f2, v43
	v_fmac_f16_e32 v7, 0xb8b4, v44
	v_fmamk_f16 v43, v46, 0xbb9c, v23
	v_sub_f16_e32 v44, v12, v16
	v_sub_f16_e32 v48, v15, v13
	;; [unrolled: 1-line block ×3, first 2 shown]
	v_fmac_f16_e32 v23, 0x3b9c, v46
	v_lshrrev_b32_e32 v6, 16, v0
	v_add_f16_e32 v22, v22, v13
	v_add_f16_e32 v59, v15, v47
	v_fmac_f16_e32 v43, 0xb8b4, v44
	v_add_f16_e32 v48, v48, v57
	v_fmac_f16_e32 v23, 0x38b4, v44
	v_add_f16_e32 v22, v22, v17
	v_fmac_f16_e32 v0, -0.5, v59
	v_add_f16_e32 v57, v12, v16
	v_fmac_f16_e32 v43, 0x34f2, v48
	v_fmac_f16_e32 v23, 0x34f2, v48
	v_add_f16_e32 v48, v6, v11
	v_fmac_f16_e32 v50, 0x34f2, v21
	v_fmac_f16_e32 v7, 0x34f2, v21
	v_add_f16_e32 v21, v22, v47
	v_fmamk_f16 v22, v44, 0x3b9c, v0
	v_fmac_f16_e32 v0, 0xbb9c, v44
	v_add_f16_e32 v44, v48, v12
	v_fma_f16 v48, -0.5, v57, v6
	v_add_f16_e32 v57, v11, v54
	v_sub_f16_e32 v59, v13, v15
	v_sub_f16_e32 v13, v13, v17
	v_add_f16_e32 v44, v44, v16
	v_sub_f16_e32 v64, v17, v47
	v_fmac_f16_e32 v6, -0.5, v57
	v_sub_f16_e32 v15, v15, v47
	v_fmac_f16_e32 v22, 0xb8b4, v46
	v_add_f16_e32 v17, v44, v54
	v_sub_f16_e32 v44, v11, v12
	v_fmamk_f16 v57, v13, 0xbb9c, v6
	v_sub_f16_e32 v11, v12, v11
	v_sub_f16_e32 v12, v16, v54
	v_fmac_f16_e32 v6, 0x3b9c, v13
	v_add_f16_e32 v47, v59, v64
	v_fmac_f16_e32 v0, 0x38b4, v46
	v_fmac_f16_e32 v57, 0x38b4, v15
	v_add_f16_e32 v11, v11, v12
	v_fmac_f16_e32 v6, 0xb8b4, v15
	v_fmamk_f16 v46, v15, 0x3b9c, v48
	v_fmac_f16_e32 v48, 0xbb9c, v15
	v_pack_b32_f16 v12, v19, v49
	v_fmac_f16_e32 v22, 0x34f2, v47
	v_fmac_f16_e32 v0, 0x34f2, v47
	v_sub_f16_e32 v47, v54, v16
	v_fmac_f16_e32 v57, 0x34f2, v11
	v_fmac_f16_e32 v6, 0x34f2, v11
	v_pack_b32_f16 v11, v14, v51
	v_pack_b32_f16 v2, v2, v10
	;; [unrolled: 1-line block ×3, first 2 shown]
	v_fmac_f16_e32 v46, 0x38b4, v13
	v_fmac_f16_e32 v48, 0xb8b4, v13
	ds_write_b32 v72, v12
	v_pack_b32_f16 v12, v18, v58
	v_pack_b32_f16 v13, v29, v60
	;; [unrolled: 1-line block ×3, first 2 shown]
	v_add_nc_u32_e32 v9, 0x200, v93
	v_add_f16_e32 v16, v44, v47
	v_pack_b32_f16 v1, v1, v20
	ds_write2_b32 v93, v11, v10 offset0:85 offset1:102
	ds_write2_b32 v93, v12, v13 offset0:170 offset1:187
	;; [unrolled: 1-line block ×3, first 2 shown]
	v_pack_b32_f16 v2, v30, v62
	v_add_nc_u32_e32 v3, 0x400, v93
	v_pack_b32_f16 v14, v28, v31
	v_pack_b32_f16 v9, v32, v35
	;; [unrolled: 1-line block ×4, first 2 shown]
	v_fmac_f16_e32 v46, 0x34f2, v16
	v_pack_b32_f16 v4, v4, v8
	v_pack_b32_f16 v8, v34, v63
	v_add_nc_u32_e32 v12, 0x200, v110
	v_fmac_f16_e32 v48, 0x34f2, v16
	v_pack_b32_f16 v13, v24, v27
	ds_write2_b32 v3, v1, v2 offset0:84 offset1:101
	ds_write2_b32 v93, v14, v9 offset0:17 offset1:34
	;; [unrolled: 1-line block ×4, first 2 shown]
	ds_write_b32 v93, v13 offset:204
	v_pack_b32_f16 v1, v42, v40
	v_pack_b32_f16 v2, v25, v50
	;; [unrolled: 1-line block ×4, first 2 shown]
	v_add_nc_u32_e32 v5, 0x200, v109
	v_pack_b32_f16 v7, v21, v17
	v_pack_b32_f16 v8, v43, v46
	;; [unrolled: 1-line block ×5, first 2 shown]
	v_add_nc_u32_e32 v10, 0x200, v53
	ds_write2_b32 v109, v1, v2 offset0:85 offset1:170
	ds_write2_b32 v5, v3, v4 offset0:127 offset1:212
	ds_write_b32 v93, v7 offset:272
	ds_write2_b32 v53, v8, v9 offset0:85 offset1:170
	ds_write2_b32 v10, v0, v6 offset0:127 offset1:212
	s_waitcnt lgkmcnt(0)
	s_barrier
	buffer_gl0_inv
	ds_read2_b32 v[0:1], v72 offset1:25
	s_waitcnt lgkmcnt(0)
	v_lshrrev_b32_e32 v4, 16, v0
	v_lshrrev_b32_e32 v10, 16, v1
	v_mul_f16_sdwa v2, v91, v4 dst_sel:DWORD dst_unused:UNUSED_PAD src0_sel:WORD_1 src1_sel:DWORD
	v_mul_f16_sdwa v11, v90, v10 dst_sel:DWORD dst_unused:UNUSED_PAD src0_sel:WORD_1 src1_sel:DWORD
	v_fmac_f16_e32 v2, v91, v0
	v_mul_f16_sdwa v0, v91, v0 dst_sel:DWORD dst_unused:UNUSED_PAD src0_sel:WORD_1 src1_sel:DWORD
	v_fmac_f16_e32 v11, v90, v1
	v_mul_f16_sdwa v1, v90, v1 dst_sel:DWORD dst_unused:UNUSED_PAD src0_sel:WORD_1 src1_sel:DWORD
	v_cvt_f32_f16_e32 v2, v2
	v_fma_f16 v0, v91, v4, -v0
	v_fma_f16 v1, v90, v10, -v1
	v_cvt_f64_f32_e32 v[2:3], v2
	v_cvt_f32_f16_e32 v0, v0
	v_cvt_f32_f16_e32 v1, v1
	v_cvt_f64_f32_e32 v[4:5], v0
	v_mul_f64 v[2:3], v[2:3], s[4:5]
	v_mul_f64 v[4:5], v[4:5], s[4:5]
	v_and_or_b32 v0, 0x1ff, v3, v2
	v_lshrrev_b32_e32 v2, 8, v3
	v_bfe_u32 v6, v3, 20, 11
	v_cmp_ne_u32_e64 s0, 0, v0
	v_and_or_b32 v4, 0x1ff, v5, v4
	v_lshrrev_b32_e32 v9, 8, v5
	v_bfe_u32 v12, v5, 20, 11
	v_add_nc_u32_e32 v13, 0xfffffc10, v6
	v_cndmask_b32_e64 v0, 0, 1, s0
	v_cmp_ne_u32_e64 s0, 0, v4
	v_cmp_eq_u32_e64 s2, 0x40f, v13
	v_and_or_b32 v2, 0xffe, v2, v0
	v_sub_nc_u32_e32 v0, 0x3f1, v6
	v_cndmask_b32_e64 v4, 0, 1, s0
	v_cvt_f32_f16_e32 v6, v11
	v_or_b32_e32 v7, 0x1000, v2
	v_med3_i32 v0, v0, 0, 13
	v_and_or_b32 v4, 0xffe, v9, v4
	v_sub_nc_u32_e32 v9, 0x3f1, v12
	v_lshl_or_b32 v15, v13, 12, v2
	v_lshrrev_b32_e32 v8, v0, v7
	v_or_b32_e32 v11, 0x1000, v4
	v_med3_i32 v14, v9, 0, 13
	v_lshlrev_b32_e32 v0, v0, v8
	v_lshrrev_b32_e32 v16, v14, v11
	v_cmp_ne_u32_e64 s0, v0, v7
	v_cvt_f64_f32_e32 v[6:7], v6
	v_lshlrev_b32_e32 v14, v14, v16
	v_cndmask_b32_e64 v0, 0, 1, s0
	v_cmp_gt_i32_e64 s0, 1, v13
	v_or_b32_e32 v0, v8, v0
	v_mad_u64_u32 v[8:9], null, s10, v38, 0
	v_cndmask_b32_e64 v15, v15, v0, s0
	v_cmp_ne_u32_e64 s0, v14, v11
	v_add_nc_u32_e32 v14, 0xfffffc10, v12
	v_mov_b32_e32 v0, v9
	v_and_b32_e32 v17, 7, v15
	v_cndmask_b32_e64 v9, 0, 1, s0
	v_lshrrev_b32_e32 v11, 2, v15
	v_lshl_or_b32 v12, v14, 12, v4
	v_mul_f64 v[6:7], v[6:7], s[4:5]
	v_cmp_lt_i32_e64 s0, 5, v17
	v_cmp_eq_u32_e64 s1, 3, v17
	v_or_b32_e32 v9, v16, v9
	s_or_b32 s0, s1, s0
	v_add_co_ci_u32_e64 v11, s0, 0, v11, s0
	v_cmp_gt_i32_e64 s0, 1, v14
	v_cndmask_b32_e64 v12, v12, v9, s0
	v_cmp_ne_u32_e64 s0, 0, v2
	v_and_b32_e32 v15, 7, v12
	v_cndmask_b32_e64 v2, 0, 1, s0
	v_cmp_gt_i32_e64 s0, 31, v13
	v_and_or_b32 v6, 0x1ff, v7, v6
	v_bfe_u32 v17, v7, 20, 11
	v_cmp_eq_u32_e64 s1, 3, v15
	v_lshl_or_b32 v16, v2, 9, 0x7c00
	v_cvt_f64_f32_e32 v[1:2], v1
	v_cndmask_b32_e64 v11, 0x7c00, v11, s0
	v_cmp_lt_i32_e64 s0, 5, v15
	v_sub_nc_u32_e32 v18, 0x3f1, v17
	v_add_nc_u32_e32 v17, 0xfffffc10, v17
	v_cndmask_b32_e64 v15, v11, v16, s2
	s_or_b32 s0, s1, s0
	v_lshrrev_b32_e32 v16, 16, v3
	v_mad_u64_u32 v[9:10], null, s11, v38, v[0:1]
	v_lshrrev_b32_e32 v0, 2, v12
	v_mad_u64_u32 v[10:11], null, s8, v88, 0
	ds_read2_b32 v[12:13], v72 offset0:50 offset1:75
	v_add_co_ci_u32_e64 v3, s0, 0, v0, s0
	v_cmp_ne_u32_e64 s0, 0, v6
	v_lshrrev_b32_e32 v6, 8, v7
	v_lshrrev_b32_e32 v7, 16, v7
	v_cndmask_b32_e64 v0, 0, 1, s0
	v_cmp_ne_u32_e64 s0, 0, v4
	v_and_or_b32 v6, 0xffe, v6, v0
	v_mul_f64 v[0:1], v[1:2], s[4:5]
	v_cndmask_b32_e64 v4, 0, 1, s0
	v_cmp_gt_i32_e64 s0, 31, v14
	v_mov_b32_e32 v2, v11
	v_or_b32_e32 v19, 0x1000, v6
	v_med3_i32 v11, v18, 0, 13
	v_lshl_or_b32 v4, v4, 9, 0x7c00
	v_cndmask_b32_e64 v3, 0x7c00, v3, s0
	v_cmp_eq_u32_e64 s0, 0x40f, v14
	v_and_or_b32 v14, 0x8000, v16, v15
	s_waitcnt lgkmcnt(0)
	v_lshrrev_b32_e32 v16, 16, v12
	v_cndmask_b32_e64 v4, v3, v4, s0
	v_mad_u64_u32 v[2:3], null, s9, v88, v[2:3]
	v_lshrrev_b32_e32 v3, 16, v5
	v_lshrrev_b32_e32 v5, v11, v19
	v_and_b32_e32 v14, 0xffff, v14
	v_and_or_b32 v15, 0x8000, v3, v4
	v_lshlrev_b32_e32 v3, v11, v5
	v_and_or_b32 v0, 0x1ff, v1, v0
	v_mov_b32_e32 v11, v2
	v_lshrrev_b32_e32 v4, 8, v1
	v_bfe_u32 v18, v1, 20, 11
	v_cmp_ne_u32_e64 s0, v3, v19
	v_mul_f16_sdwa v3, v89, v16 dst_sel:DWORD dst_unused:UNUSED_PAD src0_sel:WORD_1 src1_sel:DWORD
	v_lshl_or_b32 v14, v15, 16, v14
	v_lshlrev_b64 v[10:11], 2, v[10:11]
	v_lshrrev_b32_e32 v1, 16, v1
	v_cndmask_b32_e64 v2, 0, 1, s0
	v_cmp_ne_u32_e64 s0, 0, v0
	v_fmac_f16_e32 v3, v89, v12
	v_or_b32_e32 v2, v5, v2
	v_cndmask_b32_e64 v0, 0, 1, s0
	v_lshl_or_b32 v5, v17, 12, v6
	v_cmp_gt_i32_e64 s0, 1, v17
	v_cvt_f32_f16_e32 v19, v3
	v_and_or_b32 v0, 0xffe, v4, v0
	v_sub_nc_u32_e32 v4, 0x3f1, v18
	v_cndmask_b32_e64 v20, v5, v2, s0
	v_lshlrev_b64 v[2:3], 2, v[8:9]
	v_add_nc_u32_e32 v18, 0xfffffc10, v18
	v_or_b32_e32 v21, 0x1000, v0
	v_med3_i32 v22, v4, 0, 13
	v_cvt_f64_f32_e32 v[4:5], v19
	v_and_b32_e32 v8, 7, v20
	v_add_co_u32 v2, s0, s6, v2
	v_lshrrev_b32_e32 v9, v22, v21
	v_add_co_ci_u32_e64 v3, s0, s7, v3, s0
	v_cmp_lt_i32_e64 s0, 5, v8
	v_cmp_eq_u32_e64 s1, 3, v8
	v_lshlrev_b32_e32 v15, v22, v9
	v_mul_f16_sdwa v8, v89, v12 dst_sel:DWORD dst_unused:UNUSED_PAD src0_sel:WORD_1 src1_sel:DWORD
	v_lshrrev_b32_e32 v12, 2, v20
	s_or_b32 s0, s1, s0
	v_cmp_ne_u32_e64 s2, v15, v21
	v_fma_f16 v8, v89, v16, -v8
	v_add_co_ci_u32_e64 v12, s0, 0, v12, s0
	v_cmp_ne_u32_e64 s0, 0, v6
	v_cndmask_b32_e64 v15, 0, 1, s2
	v_cvt_f32_f16_e32 v8, v8
	s_mul_i32 s2, s8, 25
	v_mul_f64 v[4:5], v[4:5], s[4:5]
	v_cndmask_b32_e64 v6, 0, 1, s0
	v_or_b32_e32 v9, v9, v15
	v_lshl_or_b32 v15, v18, 12, v0
	v_cmp_gt_i32_e64 s0, 1, v18
	v_lshl_or_b32 v6, v6, 9, 0x7c00
	v_cndmask_b32_e64 v15, v15, v9, s0
	v_cmp_gt_i32_e64 s0, 31, v17
	v_cvt_f64_f32_e32 v[8:9], v8
	v_and_b32_e32 v16, 7, v15
	v_cndmask_b32_e64 v12, 0x7c00, v12, s0
	v_add_co_u32 v10, s0, v2, v10
	v_add_co_ci_u32_e64 v11, s0, v3, v11, s0
	v_cmp_eq_u32_e64 s0, 0x40f, v17
	v_cmp_eq_u32_e64 s1, 3, v16
	v_and_or_b32 v4, 0x1ff, v5, v4
	global_store_dword v[10:11], v14, off
	v_cndmask_b32_e64 v6, v12, v6, s0
	v_cmp_lt_i32_e64 s0, 5, v16
	v_lshrrev_b32_e32 v12, 2, v15
	v_lshrrev_b32_e32 v15, 16, v13
	v_and_or_b32 v14, 0x8000, v7, v6
	s_or_b32 s0, s1, s0
	s_mul_hi_u32 s1, s8, 25
	v_add_co_ci_u32_e64 v12, s0, 0, v12, s0
	v_cmp_ne_u32_e64 s0, 0, v0
	v_mul_f64 v[6:7], v[8:9], s[4:5]
	v_lshrrev_b32_e32 v8, 8, v5
	v_bfe_u32 v9, v5, 20, 11
	v_mul_f16_sdwa v16, v87, v15 dst_sel:DWORD dst_unused:UNUSED_PAD src0_sel:WORD_1 src1_sel:DWORD
	v_cndmask_b32_e64 v0, 0, 1, s0
	v_cmp_ne_u32_e64 s0, 0, v4
	v_and_b32_e32 v14, 0xffff, v14
	v_add_nc_u32_e32 v20, 0xfffffc10, v9
	v_fmac_f16_e32 v16, v87, v13
	v_lshl_or_b32 v0, v0, 9, 0x7c00
	v_cndmask_b32_e64 v4, 0, 1, s0
	v_cmp_gt_i32_e64 s0, 31, v18
	v_and_or_b32 v4, 0xffe, v8, v4
	v_cndmask_b32_e64 v12, 0x7c00, v12, s0
	v_sub_nc_u32_e32 v8, 0x3f1, v9
	v_cmp_eq_u32_e64 s0, 0x40f, v18
	v_med3_i32 v8, v8, 0, 13
	v_cndmask_b32_e64 v0, v12, v0, s0
	v_or_b32_e32 v12, 0x1000, v4
	v_and_or_b32 v6, 0x1ff, v7, v6
	s_mul_i32 s0, s9, 25
	v_bfe_u32 v19, v7, 20, 11
	v_and_or_b32 v18, 0x8000, v1, v0
	v_lshrrev_b32_e32 v17, v8, v12
	s_add_i32 s3, s1, s0
	v_cvt_f32_f16_e32 v0, v16
	v_cmp_ne_u32_e64 s0, 0, v6
	v_lshrrev_b32_e32 v16, 8, v7
	v_lshlrev_b32_e32 v8, v8, v17
	v_sub_nc_u32_e32 v9, 0x3f1, v19
	v_cvt_f64_f32_e32 v[0:1], v0
	v_cndmask_b32_e64 v6, 0, 1, s0
	s_lshl_b64 s[6:7], s[2:3], 2
	v_cmp_ne_u32_e64 s0, v8, v12
	v_mul_f16_sdwa v12, v87, v13 dst_sel:DWORD dst_unused:UNUSED_PAD src0_sel:WORD_1 src1_sel:DWORD
	v_lshl_or_b32 v13, v20, 12, v4
	v_and_or_b32 v6, 0xffe, v16, v6
	v_med3_i32 v9, v9, 0, 13
	v_cndmask_b32_e64 v8, 0, 1, s0
	v_fma_f16 v12, v87, v15, -v12
	v_cmp_gt_i32_e64 s0, 1, v20
	v_or_b32_e32 v16, 0x1000, v6
	v_lshl_or_b32 v14, v18, 16, v14
	v_or_b32_e32 v8, v17, v8
	v_lshrrev_b32_e32 v7, 16, v7
	v_lshrrev_b32_e32 v15, v9, v16
	v_cndmask_b32_e64 v13, v13, v8, s0
	v_cvt_f32_f16_e32 v8, v12
	v_add_co_u32 v10, s0, v10, s6
	v_lshlrev_b32_e32 v17, v9, v15
	v_and_b32_e32 v12, 7, v13
	v_cvt_f64_f32_e32 v[8:9], v8
	v_mul_f64 v[0:1], v[0:1], s[4:5]
	v_add_co_ci_u32_e64 v11, s0, s7, v11, s0
	v_cmp_lt_i32_e64 s0, 5, v12
	v_cmp_eq_u32_e64 s1, 3, v12
	v_lshrrev_b32_e32 v12, 2, v13
	v_cmp_ne_u32_e64 s2, v17, v16
	v_add_nc_u32_e32 v16, 0xfffffc10, v19
	global_store_dword v[10:11], v14, off
	s_or_b32 s0, s1, s0
	v_add_co_ci_u32_e64 v12, s0, 0, v12, s0
	v_cndmask_b32_e64 v13, 0, 1, s2
	v_cmp_gt_i32_e64 s0, 31, v20
	v_cmp_eq_u32_e64 s2, 0x40f, v20
	v_or_b32_e32 v13, v15, v13
	v_lshl_or_b32 v15, v16, 12, v6
	v_cndmask_b32_e64 v14, 0x7c00, v12, s0
	v_cmp_gt_i32_e64 s0, 1, v16
	v_mul_f64 v[8:9], v[8:9], s[4:5]
	v_and_or_b32 v0, 0x1ff, v1, v0
	v_lshrrev_b32_e32 v18, 8, v1
	v_bfe_u32 v19, v1, 20, 11
	v_cndmask_b32_e64 v15, v15, v13, s0
	v_cmp_ne_u32_e64 s0, 0, v4
	ds_read2_b32 v[12:13], v72 offset0:100 offset1:125
	v_and_b32_e32 v17, 7, v15
	v_cndmask_b32_e64 v4, 0, 1, s0
	v_cmp_ne_u32_e64 s0, 0, v0
	v_cmp_eq_u32_e64 s1, 3, v17
	v_lshl_or_b32 v4, v4, 9, 0x7c00
	v_cndmask_b32_e64 v0, 0, 1, s0
	v_cmp_lt_i32_e64 s0, 5, v17
	v_sub_nc_u32_e32 v17, 0x3f1, v19
	v_cndmask_b32_e64 v14, v14, v4, s2
	v_lshrrev_b32_e32 v4, 2, v15
	v_and_or_b32 v0, 0xffe, v18, v0
	s_or_b32 s0, s1, s0
	v_med3_i32 v17, v17, 0, 13
	v_and_or_b32 v8, 0x1ff, v9, v8
	v_add_co_ci_u32_e64 v4, s0, 0, v4, s0
	v_or_b32_e32 v15, 0x1000, v0
	v_cmp_gt_i32_e64 s0, 31, v16
	v_lshrrev_b32_e32 v18, 16, v5
	s_waitcnt lgkmcnt(0)
	v_lshrrev_b32_e32 v21, 16, v12
	v_bfe_u32 v23, v9, 20, 11
	v_lshrrev_b32_e32 v5, v17, v15
	v_cndmask_b32_e64 v20, 0x7c00, v4, s0
	v_cmp_ne_u32_e64 s0, 0, v8
	v_mul_f16_sdwa v22, v86, v21 dst_sel:DWORD dst_unused:UNUSED_PAD src0_sel:WORD_1 src1_sel:DWORD
	v_and_or_b32 v14, 0x8000, v18, v14
	v_lshlrev_b32_e32 v4, v17, v5
	v_lshrrev_b32_e32 v17, 8, v9
	v_cndmask_b32_e64 v8, 0, 1, s0
	v_cmp_ne_u32_e64 s0, 0, v6
	v_fmac_f16_e32 v22, v86, v12
	v_and_b32_e32 v14, 0xffff, v14
	v_and_or_b32 v8, 0xffe, v17, v8
	v_cndmask_b32_e64 v6, 0, 1, s0
	v_sub_nc_u32_e32 v17, 0x3f1, v23
	v_cmp_ne_u32_e64 s0, v4, v15
	v_add_nc_u32_e32 v15, 0xfffffc10, v19
	v_cvt_f32_f16_e32 v19, v22
	v_or_b32_e32 v22, 0x1000, v8
	v_med3_i32 v17, v17, 0, 13
	v_cndmask_b32_e64 v4, 0, 1, s0
	v_lshl_or_b32 v6, v6, 9, 0x7c00
	v_cmp_eq_u32_e64 s0, 0x40f, v16
	v_lshrrev_b32_e32 v25, v17, v22
	v_or_b32_e32 v24, v5, v4
	v_cvt_f64_f32_e32 v[4:5], v19
	v_lshl_or_b32 v19, v15, 12, v0
	v_cndmask_b32_e64 v6, v20, v6, s0
	v_cmp_gt_i32_e64 s0, 1, v15
	v_lshlrev_b32_e32 v17, v17, v25
	v_and_or_b32 v18, 0x8000, v7, v6
	v_cndmask_b32_e64 v16, v19, v24, s0
	v_mul_f16_sdwa v6, v86, v12 dst_sel:DWORD dst_unused:UNUSED_PAD src0_sel:WORD_1 src1_sel:DWORD
	v_cmp_ne_u32_e64 s0, v17, v22
	v_add_nc_u32_e32 v17, 0xfffffc10, v23
	v_lshl_or_b32 v14, v18, 16, v14
	v_and_b32_e32 v7, 7, v16
	v_fma_f16 v6, v86, v21, -v6
	v_cndmask_b32_e64 v12, 0, 1, s0
	v_cmp_gt_i32_e64 s2, 1, v17
	v_lshrrev_b32_e32 v16, 2, v16
	v_cmp_lt_i32_e64 s0, 5, v7
	v_cmp_eq_u32_e64 s1, 3, v7
	v_or_b32_e32 v7, v25, v12
	v_lshl_or_b32 v12, v17, 12, v8
	v_cvt_f32_f16_e32 v6, v6
	v_mul_f64 v[4:5], v[4:5], s[4:5]
	s_or_b32 s0, s1, s0
	v_lshrrev_b32_e32 v18, 16, v13
	v_cndmask_b32_e64 v12, v12, v7, s2
	v_cvt_f64_f32_e32 v[6:7], v6
	v_add_co_ci_u32_e64 v16, s0, 0, v16, s0
	v_cmp_ne_u32_e64 s0, 0, v0
	v_and_b32_e32 v19, 7, v12
	v_cmp_eq_u32_e64 s2, 0x40f, v15
	v_cndmask_b32_e64 v0, 0, 1, s0
	v_cmp_gt_i32_e64 s0, 31, v15
	v_cmp_eq_u32_e64 s1, 3, v19
	v_lshl_or_b32 v0, v0, 9, 0x7c00
	v_cndmask_b32_e64 v16, 0x7c00, v16, s0
	v_cmp_lt_i32_e64 s0, 5, v19
	v_and_or_b32 v4, 0x1ff, v5, v4
	v_cndmask_b32_e64 v15, v16, v0, s2
	v_lshrrev_b32_e32 v0, 2, v12
	s_or_b32 s0, s1, s0
	v_lshrrev_b32_e32 v12, 16, v1
	v_bfe_u32 v19, v5, 20, 11
	v_add_co_ci_u32_e64 v16, s0, 0, v0, s0
	v_mul_f64 v[0:1], v[6:7], s[4:5]
	v_cmp_ne_u32_e64 s0, 0, v4
	v_lshrrev_b32_e32 v6, 8, v5
	v_mul_f16_sdwa v7, v85, v18 dst_sel:DWORD dst_unused:UNUSED_PAD src0_sel:WORD_1 src1_sel:DWORD
	v_cndmask_b32_e64 v4, 0, 1, s0
	v_cmp_ne_u32_e64 s0, 0, v8
	v_fmac_f16_e32 v7, v85, v13
	v_mul_f16_sdwa v13, v85, v13 dst_sel:DWORD dst_unused:UNUSED_PAD src0_sel:WORD_1 src1_sel:DWORD
	v_and_or_b32 v4, 0xffe, v6, v4
	v_sub_nc_u32_e32 v6, 0x3f1, v19
	v_cndmask_b32_e64 v8, 0, 1, s0
	v_cmp_gt_i32_e64 s0, 31, v17
	v_or_b32_e32 v20, 0x1000, v4
	v_med3_i32 v21, v6, 0, 13
	v_lshl_or_b32 v8, v8, 9, 0x7c00
	v_cndmask_b32_e64 v16, 0x7c00, v16, s0
	v_cmp_eq_u32_e64 s0, 0x40f, v17
	v_cvt_f32_f16_e32 v6, v7
	v_lshrrev_b32_e32 v22, v21, v20
	v_and_or_b32 v0, 0x1ff, v1, v0
	v_lshrrev_b32_e32 v17, 16, v9
	v_cndmask_b32_e64 v16, v16, v8, s0
	v_add_co_u32 v8, s0, v10, s6
	v_add_co_ci_u32_e64 v9, s0, s7, v11, s0
	v_cvt_f64_f32_e32 v[6:7], v6
	v_and_or_b32 v10, 0x8000, v12, v15
	v_lshlrev_b32_e32 v12, v21, v22
	v_cmp_ne_u32_e64 s0, 0, v0
	v_and_or_b32 v11, 0x8000, v17, v16
	v_lshrrev_b32_e32 v15, 8, v1
	v_bfe_u32 v16, v1, 20, 11
	v_add_nc_u32_e32 v17, 0xfffffc10, v19
	v_cndmask_b32_e64 v0, 0, 1, s0
	v_cmp_ne_u32_e64 s0, v12, v20
	v_and_b32_e32 v10, 0xffff, v10
	global_store_dword v[8:9], v14, off
	v_lshl_or_b32 v19, v17, 12, v4
	v_and_or_b32 v0, 0xffe, v15, v0
	v_cndmask_b32_e64 v12, 0, 1, s0
	v_sub_nc_u32_e32 v15, 0x3f1, v16
	v_cmp_gt_i32_e64 s0, 1, v17
	v_lshl_or_b32 v21, v11, 16, v10
	v_or_b32_e32 v20, 0x1000, v0
	v_or_b32_e32 v12, v22, v12
	v_med3_i32 v15, v15, 0, 13
	v_add_nc_u32_e32 v14, 0xfffffc10, v16
	v_mul_f64 v[6:7], v[6:7], s[4:5]
	v_cmp_gt_i32_e64 s2, 31, v17
	v_cndmask_b32_e64 v12, v19, v12, s0
	v_lshrrev_b32_e32 v19, v15, v20
	v_add_co_u32 v10, s0, v8, s6
	v_fma_f16 v8, v85, v18, -v13
	v_and_b32_e32 v22, 7, v12
	v_lshlrev_b32_e32 v15, v15, v19
	v_add_co_ci_u32_e64 v11, s0, s7, v9, s0
	v_cvt_f32_f16_e32 v8, v8
	v_cmp_lt_i32_e64 s0, 5, v22
	v_cmp_ne_u32_e64 s1, v15, v20
	v_lshrrev_b32_e32 v12, 2, v12
	v_lshl_or_b32 v15, v14, 12, v0
	global_store_dword v[10:11], v21, off
	v_lshrrev_b32_e32 v1, 16, v1
	v_cndmask_b32_e64 v9, 0, 1, s1
	v_cmp_eq_u32_e64 s1, 3, v22
	v_and_or_b32 v6, 0x1ff, v7, v6
	v_or_b32_e32 v13, v19, v9
	v_cvt_f64_f32_e32 v[8:9], v8
	s_or_b32 s0, s1, s0
	v_bfe_u32 v18, v7, 20, 11
	v_add_co_ci_u32_e64 v16, s0, 0, v12, s0
	v_cmp_gt_i32_e64 s0, 1, v14
	v_lshrrev_b32_e32 v12, 8, v7
	v_sub_nc_u32_e32 v20, 0x3f1, v18
	v_cndmask_b32_e64 v16, 0x7c00, v16, s2
	v_add_nc_u32_e32 v18, 0xfffffc10, v18
	v_cndmask_b32_e64 v15, v15, v13, s0
	v_cmp_ne_u32_e64 s0, 0, v6
	v_med3_i32 v20, v20, 0, 13
	v_and_b32_e32 v19, 7, v15
	v_cndmask_b32_e64 v6, 0, 1, s0
	v_cmp_ne_u32_e64 s0, 0, v4
	v_lshrrev_b32_e32 v15, 2, v15
	v_cmp_eq_u32_e64 s1, 3, v19
	v_and_or_b32 v6, 0xffe, v12, v6
	ds_read2_b32 v[12:13], v72 offset0:150 offset1:175
	v_cndmask_b32_e64 v4, 0, 1, s0
	v_cmp_lt_i32_e64 s0, 5, v19
	v_mul_f64 v[8:9], v[8:9], s[4:5]
	v_or_b32_e32 v19, 0x1000, v6
	v_lshl_or_b32 v4, v4, 9, 0x7c00
	s_or_b32 s0, s1, s0
	v_add_co_ci_u32_e64 v15, s0, 0, v15, s0
	v_cmp_eq_u32_e64 s0, 0x40f, v17
	v_lshrrev_b32_e32 v21, v20, v19
	v_lshrrev_b32_e32 v17, 16, v5
	v_cndmask_b32_e64 v16, v16, v4, s0
	v_cmp_gt_i32_e64 s0, 31, v14
	v_lshlrev_b32_e32 v4, v20, v21
	s_waitcnt lgkmcnt(0)
	v_lshrrev_b32_e32 v20, 16, v12
	v_and_or_b32 v16, 0x8000, v17, v16
	v_cndmask_b32_e64 v15, 0x7c00, v15, s0
	v_cmp_ne_u32_e64 s0, 0, v0
	v_mul_f16_sdwa v5, v84, v20 dst_sel:DWORD dst_unused:UNUSED_PAD src0_sel:WORD_1 src1_sel:DWORD
	v_and_or_b32 v8, 0x1ff, v9, v8
	v_bfe_u32 v22, v9, 20, 11
	v_cndmask_b32_e64 v0, 0, 1, s0
	v_cmp_ne_u32_e64 s0, v4, v19
	v_fmac_f16_e32 v5, v84, v12
	v_lshl_or_b32 v19, v18, 12, v6
	v_lshl_or_b32 v0, v0, 9, 0x7c00
	v_cndmask_b32_e64 v4, 0, 1, s0
	v_cmp_ne_u32_e64 s0, 0, v8
	v_cvt_f32_f16_e32 v5, v5
	v_or_b32_e32 v4, v21, v4
	v_cndmask_b32_e64 v8, 0, 1, s0
	v_cmp_gt_i32_e64 s0, 1, v18
	v_lshrrev_b32_e32 v21, 8, v9
	v_cndmask_b32_e64 v19, v19, v4, s0
	v_cvt_f64_f32_e32 v[4:5], v5
	v_cmp_eq_u32_e64 s0, 0x40f, v14
	v_and_or_b32 v8, 0xffe, v21, v8
	v_sub_nc_u32_e32 v21, 0x3f1, v22
	v_and_b32_e32 v14, 7, v19
	v_cndmask_b32_e64 v0, v15, v0, s0
	v_or_b32_e32 v15, 0x1000, v8
	v_med3_i32 v21, v21, 0, 13
	v_cmp_lt_i32_e64 s0, 5, v14
	v_cmp_eq_u32_e64 s1, 3, v14
	v_and_or_b32 v17, 0x8000, v1, v0
	v_mul_f16_sdwa v0, v84, v12 dst_sel:DWORD dst_unused:UNUSED_PAD src0_sel:WORD_1 src1_sel:DWORD
	v_lshrrev_b32_e32 v12, v21, v15
	v_lshrrev_b32_e32 v1, 2, v19
	v_and_b32_e32 v14, 0xffff, v16
	s_or_b32 s0, s1, s0
	v_fma_f16 v0, v84, v20, -v0
	v_lshlrev_b32_e32 v16, v21, v12
	v_add_co_ci_u32_e64 v19, s0, 0, v1, s0
	v_lshl_or_b32 v14, v17, 16, v14
	v_cvt_f32_f16_e32 v20, v0
	v_cmp_ne_u32_e64 s0, v16, v15
	v_mul_f64 v[0:1], v[4:5], s[4:5]
	v_add_nc_u32_e32 v16, 0xfffffc10, v22
	v_lshrrev_b32_e32 v17, 16, v7
	v_cvt_f64_f32_e32 v[4:5], v20
	v_cndmask_b32_e64 v15, 0, 1, s0
	v_cmp_ne_u32_e64 s0, 0, v6
	v_or_b32_e32 v12, v12, v15
	v_cndmask_b32_e64 v6, 0, 1, s0
	v_cmp_gt_i32_e64 s0, 31, v18
	v_lshl_or_b32 v15, v16, 12, v8
	v_lshl_or_b32 v6, v6, 9, 0x7c00
	v_cndmask_b32_e64 v19, 0x7c00, v19, s0
	v_cmp_gt_i32_e64 s0, 1, v16
	v_cndmask_b32_e64 v12, v15, v12, s0
	v_cmp_eq_u32_e64 s0, 0x40f, v18
	v_and_or_b32 v0, 0x1ff, v1, v0
	v_mul_f64 v[4:5], v[4:5], s[4:5]
	v_and_b32_e32 v18, 7, v12
	v_cndmask_b32_e64 v15, v19, v6, s0
	v_add_co_u32 v6, s0, v10, s6
	v_cmp_ne_u32_e64 s2, 0, v0
	v_add_co_ci_u32_e64 v7, s0, s7, v11, s0
	v_cmp_lt_i32_e64 s0, 5, v18
	v_cmp_eq_u32_e64 s1, 3, v18
	v_lshrrev_b32_e32 v11, 2, v12
	v_and_or_b32 v10, 0x8000, v17, v15
	v_cndmask_b32_e64 v0, 0, 1, s2
	v_lshrrev_b32_e32 v12, 8, v1
	v_bfe_u32 v15, v1, 20, 11
	s_or_b32 s0, s1, s0
	v_lshrrev_b32_e32 v17, 16, v13
	v_add_co_ci_u32_e64 v11, s0, 0, v11, s0
	v_and_or_b32 v0, 0xffe, v12, v0
	v_sub_nc_u32_e32 v12, 0x3f1, v15
	v_cmp_ne_u32_e64 s0, 0, v8
	v_mul_f16_sdwa v19, v83, v17 dst_sel:DWORD dst_unused:UNUSED_PAD src0_sel:WORD_1 src1_sel:DWORD
	v_and_or_b32 v4, 0x1ff, v5, v4
	v_or_b32_e32 v18, 0x1000, v0
	v_med3_i32 v12, v12, 0, 13
	v_cndmask_b32_e64 v8, 0, 1, s0
	v_cmp_gt_i32_e64 s0, 31, v16
	v_fmac_f16_e32 v19, v83, v13
	v_bfe_u32 v21, v5, 20, 11
	v_lshrrev_b32_e32 v20, v12, v18
	v_lshl_or_b32 v8, v8, 9, 0x7c00
	v_cndmask_b32_e64 v11, 0x7c00, v11, s0
	v_cmp_eq_u32_e64 s0, 0x40f, v16
	v_lshrrev_b32_e32 v16, 16, v9
	v_lshlrev_b32_e32 v12, v12, v20
	v_add_nc_u32_e32 v15, 0xfffffc10, v15
	v_mul_f16_sdwa v13, v83, v13 dst_sel:DWORD dst_unused:UNUSED_PAD src0_sel:WORD_1 src1_sel:DWORD
	v_cndmask_b32_e64 v11, v11, v8, s0
	v_cmp_ne_u32_e64 s0, 0, v4
	v_cvt_f32_f16_e32 v8, v19
	v_lshrrev_b32_e32 v19, 8, v5
	v_and_b32_e32 v10, 0xffff, v10
	v_and_or_b32 v11, 0x8000, v16, v11
	v_cndmask_b32_e64 v4, 0, 1, s0
	v_cmp_ne_u32_e64 s0, v12, v18
	v_cvt_f64_f32_e32 v[8:9], v8
	v_sub_nc_u32_e32 v18, 0x3f1, v21
	v_lshl_or_b32 v16, v15, 12, v0
	v_and_or_b32 v4, 0xffe, v19, v4
	v_cndmask_b32_e64 v12, 0, 1, s0
	v_cmp_gt_i32_e64 s0, 1, v15
	v_med3_i32 v18, v18, 0, 13
	v_fma_f16 v13, v83, v17, -v13
	v_or_b32_e32 v19, 0x1000, v4
	v_or_b32_e32 v12, v20, v12
	global_store_dword v[6:7], v14, off
	v_lshl_or_b32 v14, v11, 16, v10
	v_cvt_f32_f16_e32 v10, v13
	v_lshrrev_b32_e32 v5, 16, v5
	v_cndmask_b32_e64 v12, v16, v12, s0
	v_lshrrev_b32_e32 v16, v18, v19
	v_add_co_u32 v6, s0, v6, s6
	v_add_co_ci_u32_e64 v7, s0, s7, v7, s0
	v_lshlrev_b32_e32 v18, v18, v16
	v_and_b32_e32 v17, 7, v12
	v_mul_f64 v[8:9], v[8:9], s[4:5]
	v_cvt_f64_f32_e32 v[10:11], v10
	v_lshrrev_b32_e32 v12, 2, v12
	v_cmp_ne_u32_e64 s1, v18, v19
	v_cmp_lt_i32_e64 s0, 5, v17
	v_add_nc_u32_e32 v18, 0xfffffc10, v21
	global_store_dword v[6:7], v14, off
	v_cndmask_b32_e64 v13, 0, 1, s1
	v_cmp_eq_u32_e64 s1, 3, v17
	v_lshl_or_b32 v14, v18, 12, v4
	v_or_b32_e32 v13, v16, v13
	s_or_b32 s0, s1, s0
	v_add_co_ci_u32_e64 v12, s0, 0, v12, s0
	v_cmp_ne_u32_e64 s0, 0, v0
	v_and_or_b32 v8, 0x1ff, v9, v8
	v_cndmask_b32_e64 v0, 0, 1, s0
	v_cmp_gt_i32_e64 s0, 1, v18
	v_mul_f64 v[10:11], v[10:11], s[4:5]
	v_lshrrev_b32_e32 v19, 8, v9
	v_bfe_u32 v20, v9, 20, 11
	v_lshl_or_b32 v0, v0, 9, 0x7c00
	v_cndmask_b32_e64 v14, v14, v13, s0
	v_cmp_gt_i32_e64 s0, 31, v15
	v_and_b32_e32 v17, 7, v14
	v_cndmask_b32_e64 v16, 0x7c00, v12, s0
	v_cmp_ne_u32_e64 s0, 0, v8
	ds_read2_b32 v[12:13], v72 offset0:200 offset1:225
	v_cmp_eq_u32_e64 s1, 3, v17
	v_cndmask_b32_e64 v8, 0, 1, s0
	v_cmp_eq_u32_e64 s0, 0x40f, v15
	v_and_or_b32 v8, 0xffe, v19, v8
	v_cndmask_b32_e64 v15, v16, v0, s0
	v_cmp_lt_i32_e64 s0, 5, v17
	v_lshrrev_b32_e32 v16, 16, v1
	v_lshrrev_b32_e32 v1, 2, v14
	v_sub_nc_u32_e32 v0, 0x3f1, v20
	v_or_b32_e32 v14, 0x1000, v8
	s_or_b32 s0, s1, s0
	v_and_or_b32 v10, 0x1ff, v11, v10
	v_add_co_ci_u32_e64 v1, s0, 0, v1, s0
	v_med3_i32 v0, v0, 0, 13
	v_cmp_ne_u32_e64 s0, 0, v4
	s_waitcnt lgkmcnt(0)
	v_lshrrev_b32_e32 v19, 16, v12
	v_lshrrev_b32_e32 v22, 8, v11
	v_bfe_u32 v23, v11, 20, 11
	v_lshrrev_b32_e32 v17, v0, v14
	v_cndmask_b32_e64 v4, 0, 1, s0
	v_cmp_gt_i32_e64 s0, 31, v18
	v_and_or_b32 v15, 0x8000, v16, v15
	v_lshrrev_b32_e32 v11, 16, v11
	v_lshlrev_b32_e32 v0, v0, v17
	v_lshl_or_b32 v4, v4, 9, 0x7c00
	v_cndmask_b32_e64 v21, 0x7c00, v1, s0
	v_mul_f16_sdwa v1, v82, v19 dst_sel:DWORD dst_unused:UNUSED_PAD src0_sel:WORD_1 src1_sel:DWORD
	v_cmp_ne_u32_e64 s0, 0, v10
	v_and_b32_e32 v15, 0xffff, v15
	v_fmac_f16_e32 v1, v82, v12
	v_cndmask_b32_e64 v10, 0, 1, s0
	v_cmp_ne_u32_e64 s0, v0, v14
	v_add_nc_u32_e32 v14, 0xfffffc10, v20
	v_sub_nc_u32_e32 v20, 0x3f1, v23
	v_cvt_f32_f16_e32 v1, v1
	v_and_or_b32 v10, 0xffe, v22, v10
	v_cndmask_b32_e64 v0, 0, 1, s0
	v_lshl_or_b32 v22, v14, 12, v8
	v_med3_i32 v20, v20, 0, 13
	v_cmp_gt_i32_e64 s0, 1, v14
	v_or_b32_e32 v24, 0x1000, v10
	v_or_b32_e32 v17, v17, v0
	v_cvt_f64_f32_e32 v[0:1], v1
	v_mul_f16_sdwa v12, v82, v12 dst_sel:DWORD dst_unused:UNUSED_PAD src0_sel:WORD_1 src1_sel:DWORD
	v_cndmask_b32_e64 v17, v22, v17, s0
	v_cmp_eq_u32_e64 s0, 0x40f, v18
	v_lshrrev_b32_e32 v18, v20, v24
	v_and_b32_e32 v16, 7, v17
	v_cndmask_b32_e64 v4, v21, v4, s0
	v_lshlrev_b32_e32 v20, v20, v18
	v_cmp_lt_i32_e64 s0, 5, v16
	v_and_or_b32 v21, 0x8000, v5, v4
	v_fma_f16 v4, v82, v19, -v12
	v_cmp_ne_u32_e64 s1, v20, v24
	v_add_nc_u32_e32 v12, 0xfffffc10, v23
	v_lshl_or_b32 v15, v21, 16, v15
	v_cvt_f32_f16_e32 v4, v4
	v_cndmask_b32_e64 v5, 0, 1, s1
	v_cmp_eq_u32_e64 s1, 3, v16
	v_lshrrev_b32_e32 v16, 2, v17
	v_mul_f64 v[0:1], v[0:1], s[4:5]
	v_or_b32_e32 v17, v18, v5
	v_cvt_f64_f32_e32 v[4:5], v4
	s_or_b32 s0, s1, s0
	v_lshl_or_b32 v18, v12, 12, v10
	v_add_co_ci_u32_e64 v16, s0, 0, v16, s0
	v_cmp_ne_u32_e64 s0, 0, v8
	v_cndmask_b32_e64 v8, 0, 1, s0
	v_cmp_gt_i32_e64 s0, 1, v12
	v_lshl_or_b32 v8, v8, 9, 0x7c00
	v_cndmask_b32_e64 v17, v18, v17, s0
	v_cmp_gt_i32_e64 s0, 31, v14
	v_and_or_b32 v0, 0x1ff, v1, v0
	v_and_b32_e32 v18, 7, v17
	v_cndmask_b32_e64 v16, 0x7c00, v16, s0
	v_add_co_u32 v6, s0, v6, s6
	v_add_co_ci_u32_e64 v7, s0, s7, v7, s0
	v_cmp_eq_u32_e64 s0, 0x40f, v14
	v_mul_f64 v[4:5], v[4:5], s[4:5]
	v_cmp_ne_u32_e64 s2, 0, v0
	v_cmp_eq_u32_e64 s1, 3, v18
	global_store_dword v[6:7], v15, off
	v_cndmask_b32_e64 v14, v16, v8, s0
	v_cmp_lt_i32_e64 s0, 5, v18
	v_lshrrev_b32_e32 v8, 2, v17
	v_lshrrev_b32_e32 v17, 16, v13
	;; [unrolled: 1-line block ×3, first 2 shown]
	v_cndmask_b32_e64 v0, 0, 1, s2
	v_lshrrev_b32_e32 v9, 8, v1
	v_bfe_u32 v18, v1, 20, 11
	s_or_b32 s0, s1, s0
	v_mul_f16_sdwa v19, v81, v17 dst_sel:DWORD dst_unused:UNUSED_PAD src0_sel:WORD_1 src1_sel:DWORD
	v_add_co_ci_u32_e64 v8, s0, 0, v8, s0
	v_and_or_b32 v0, 0xffe, v9, v0
	v_sub_nc_u32_e32 v9, 0x3f1, v18
	v_cmp_ne_u32_e64 s0, 0, v10
	v_fmac_f16_e32 v19, v81, v13
	v_and_or_b32 v14, 0x8000, v16, v14
	v_or_b32_e32 v20, 0x1000, v0
	v_med3_i32 v21, v9, 0, 13
	v_cndmask_b32_e64 v10, 0, 1, s0
	v_cmp_gt_i32_e64 s0, 31, v12
	v_cvt_f32_f16_e32 v9, v19
	v_and_or_b32 v4, 0x1ff, v5, v4
	v_lshrrev_b32_e32 v22, v21, v20
	v_lshl_or_b32 v10, v10, 9, 0x7c00
	v_cndmask_b32_e64 v19, 0x7c00, v8, s0
	v_cmp_eq_u32_e64 s0, 0x40f, v12
	v_cvt_f64_f32_e32 v[8:9], v9
	v_lshlrev_b32_e32 v12, v21, v22
	v_lshrrev_b32_e32 v16, 8, v5
	v_add_nc_u32_e32 v18, 0xfffffc10, v18
	v_cndmask_b32_e64 v10, v19, v10, s0
	v_cmp_ne_u32_e64 s0, 0, v4
	v_bfe_u32 v19, v5, 20, 11
	v_mul_f16_sdwa v13, v81, v13 dst_sel:DWORD dst_unused:UNUSED_PAD src0_sel:WORD_1 src1_sel:DWORD
	v_and_b32_e32 v14, 0xffff, v14
	v_and_or_b32 v10, 0x8000, v11, v10
	v_cndmask_b32_e64 v4, 0, 1, s0
	v_cmp_ne_u32_e64 s0, v12, v20
	v_lshl_or_b32 v20, v18, 12, v0
	v_fma_f16 v13, v81, v17, -v13
	v_lshl_or_b32 v14, v10, 16, v14
	v_and_or_b32 v16, 0xffe, v16, v4
	v_cndmask_b32_e64 v12, 0, 1, s0
	v_sub_nc_u32_e32 v4, 0x3f1, v19
	v_cmp_gt_i32_e64 s0, 1, v18
	v_cvt_f32_f16_e32 v10, v13
	v_or_b32_e32 v11, 0x1000, v16
	v_or_b32_e32 v12, v22, v12
	v_med3_i32 v4, v4, 0, 13
	v_mul_f64 v[8:9], v[8:9], s[4:5]
	v_add_nc_u32_e32 v15, 0xfffffc10, v19
	v_lshrrev_b32_e32 v1, 16, v1
	v_cndmask_b32_e64 v12, v20, v12, s0
	v_lshrrev_b32_e32 v20, v4, v11
	v_lshl_or_b32 v13, v15, 12, v16
	v_and_b32_e32 v21, 7, v12
	v_lshlrev_b32_e32 v4, v4, v20
	v_lshrrev_b32_e32 v12, 2, v12
	v_cmp_lt_i32_e64 s0, 5, v21
	v_cmp_eq_u32_e64 s1, 3, v21
	v_cmp_ne_u32_e64 s2, v4, v11
	v_cvt_f64_f32_e32 v[10:11], v10
	s_or_b32 s0, s1, s0
	v_cndmask_b32_e64 v4, 0, 1, s2
	v_add_co_ci_u32_e64 v17, s0, 0, v12, s0
	v_cmp_ne_u32_e64 s0, 0, v0
	v_and_or_b32 v8, 0x1ff, v9, v8
	v_or_b32_e32 v12, v20, v4
	v_add_nc_u32_e32 v4, 0x200, v72
	v_lshrrev_b32_e32 v20, 8, v9
	v_cndmask_b32_e64 v0, 0, 1, s0
	v_cmp_gt_i32_e64 s0, 1, v15
	v_bfe_u32 v21, v9, 20, 11
	v_lshrrev_b32_e32 v9, 16, v9
	v_lshl_or_b32 v0, v0, 9, 0x7c00
	v_cndmask_b32_e64 v19, v13, v12, s0
	v_cmp_ne_u32_e64 s0, 0, v8
	ds_read2_b32 v[12:13], v4 offset0:122 offset1:147
	v_mul_f64 v[10:11], v[10:11], s[4:5]
	v_and_b32_e32 v22, 7, v19
	v_cndmask_b32_e64 v8, 0, 1, s0
	v_cmp_gt_i32_e64 s0, 31, v18
	v_cmp_eq_u32_e64 s1, 3, v22
	v_and_or_b32 v20, 0xffe, v20, v8
	v_cndmask_b32_e64 v17, 0x7c00, v17, s0
	v_cmp_eq_u32_e64 s0, 0x40f, v18
	v_sub_nc_u32_e32 v8, 0x3f1, v21
	v_cndmask_b32_e64 v0, v17, v0, s0
	v_cmp_lt_i32_e64 s0, 5, v22
	v_or_b32_e32 v17, 0x1000, v20
	v_med3_i32 v8, v8, 0, 13
	v_and_or_b32 v18, 0x8000, v1, v0
	v_lshrrev_b32_e32 v0, 2, v19
	s_or_b32 s0, s1, s0
	v_lshrrev_b32_e32 v22, v8, v17
	s_waitcnt lgkmcnt(0)
	v_lshrrev_b32_e32 v19, 16, v12
	v_bfe_u32 v24, v11, 20, 11
	v_add_co_ci_u32_e64 v0, s0, 0, v0, s0
	v_cmp_ne_u32_e64 s0, 0, v16
	v_lshlrev_b32_e32 v8, v8, v22
	v_mul_f16_sdwa v1, v80, v19 dst_sel:DWORD dst_unused:UNUSED_PAD src0_sel:WORD_1 src1_sel:DWORD
	v_and_b32_e32 v18, 0xffff, v18
	v_cndmask_b32_e64 v16, 0, 1, s0
	v_cmp_gt_i32_e64 s0, 31, v15
	v_fmac_f16_e32 v1, v80, v12
	v_mul_f16_sdwa v12, v80, v12 dst_sel:DWORD dst_unused:UNUSED_PAD src0_sel:WORD_1 src1_sel:DWORD
	v_lshl_or_b32 v16, v16, 9, 0x7c00
	v_cndmask_b32_e64 v23, 0x7c00, v0, s0
	v_and_or_b32 v0, 0x1ff, v11, v10
	v_cmp_ne_u32_e64 s0, v8, v17
	v_cvt_f32_f16_e32 v1, v1
	v_add_nc_u32_e32 v10, 0xfffffc10, v21
	v_lshrrev_b32_e32 v21, 8, v11
	v_lshrrev_b32_e32 v11, 16, v11
	v_cndmask_b32_e64 v8, 0, 1, s0
	v_cmp_ne_u32_e64 s0, 0, v0
	v_cvt_f64_f32_e32 v[0:1], v1
	v_or_b32_e32 v8, v22, v8
	v_cndmask_b32_e64 v17, 0, 1, s0
	v_cmp_eq_u32_e64 s0, 0x40f, v15
	v_lshrrev_b32_e32 v22, 16, v5
	v_and_or_b32 v17, 0xffe, v21, v17
	v_cndmask_b32_e64 v15, v23, v16, s0
	v_lshl_or_b32 v16, v10, 12, v20
	v_sub_nc_u32_e32 v21, 0x3f1, v24
	v_cmp_gt_i32_e64 s0, 1, v10
	v_med3_i32 v21, v21, 0, 13
	v_cndmask_b32_e64 v8, v16, v8, s0
	v_or_b32_e32 v16, 0x1000, v17
	v_add_co_u32 v5, s0, v6, s6
	v_add_co_ci_u32_e64 v6, s0, s7, v7, s0
	v_and_or_b32 v7, 0x8000, v22, v15
	v_lshrrev_b32_e32 v15, v21, v16
	v_and_b32_e32 v22, 7, v8
	v_mul_f64 v[0:1], v[0:1], s[4:5]
	global_store_dword v[5:6], v14, off
	v_lshl_or_b32 v18, v7, 16, v18
	v_lshlrev_b32_e32 v21, v21, v15
	v_fma_f16 v7, v80, v19, -v12
	v_cmp_lt_i32_e64 s0, 5, v22
	v_add_nc_u32_e32 v14, 0xfffffc10, v24
	v_cmp_ne_u32_e64 s1, v21, v16
	v_lshrrev_b32_e32 v16, 2, v8
	v_cvt_f32_f16_e32 v7, v7
	v_cndmask_b32_e64 v12, 0, 1, s1
	v_cmp_eq_u32_e64 s1, 3, v22
	v_cvt_f64_f32_e32 v[7:8], v7
	v_or_b32_e32 v12, v15, v12
	s_or_b32 s0, s1, s0
	v_lshl_or_b32 v15, v14, 12, v17
	v_add_co_ci_u32_e64 v16, s0, 0, v16, s0
	v_cmp_ne_u32_e64 s0, 0, v20
	v_and_or_b32 v0, 0x1ff, v1, v0
	v_lshrrev_b32_e32 v20, 8, v1
	v_bfe_u32 v21, v1, 20, 11
	v_cndmask_b32_e64 v19, 0, 1, s0
	v_cmp_gt_i32_e64 s0, 1, v14
	v_cndmask_b32_e64 v12, v15, v12, s0
	v_cmp_gt_i32_e64 s0, 31, v10
	v_mul_f64 v[7:8], v[7:8], s[4:5]
	v_cndmask_b32_e64 v15, 0x7c00, v16, s0
	v_cmp_ne_u32_e64 s0, 0, v0
	v_lshl_or_b32 v16, v19, 9, 0x7c00
	v_and_b32_e32 v19, 7, v12
	v_lshrrev_b32_e32 v12, 2, v12
	v_cndmask_b32_e64 v0, 0, 1, s0
	v_cmp_eq_u32_e64 s0, 0x40f, v10
	v_cmp_eq_u32_e64 s1, 3, v19
	v_and_or_b32 v0, 0xffe, v20, v0
	v_cndmask_b32_e64 v10, v15, v16, s0
	v_cmp_lt_i32_e64 s0, 5, v19
	v_sub_nc_u32_e32 v15, 0x3f1, v21
	v_lshrrev_b32_e32 v19, 16, v13
	v_or_b32_e32 v16, 0x1000, v0
	v_and_or_b32 v23, 0x8000, v9, v10
	s_or_b32 s0, s1, s0
	v_med3_i32 v15, v15, 0, 13
	v_add_co_ci_u32_e64 v12, s0, 0, v12, s0
	v_cmp_ne_u32_e64 s0, 0, v17
	v_mul_f16_sdwa v22, v79, v19 dst_sel:DWORD dst_unused:UNUSED_PAD src0_sel:WORD_1 src1_sel:DWORD
	v_lshrrev_b32_e32 v20, v15, v16
	v_and_or_b32 v7, 0x1ff, v8, v7
	v_cndmask_b32_e64 v17, 0, 1, s0
	v_cmp_gt_i32_e64 s0, 31, v14
	v_lshlrev_b32_e32 v9, v15, v20
	v_fmac_f16_e32 v22, v79, v13
	v_lshrrev_b32_e32 v15, 8, v8
	v_lshl_or_b32 v17, v17, 9, 0x7c00
	v_cndmask_b32_e64 v12, 0x7c00, v12, s0
	v_cmp_eq_u32_e64 s0, 0x40f, v14
	v_cvt_f32_f16_e32 v10, v22
	v_mul_f16_sdwa v13, v79, v13 dst_sel:DWORD dst_unused:UNUSED_PAD src0_sel:WORD_1 src1_sel:DWORD
	v_cndmask_b32_e64 v12, v12, v17, s0
	v_cmp_ne_u32_e64 s0, v9, v16
	v_cvt_f64_f32_e32 v[9:10], v10
	v_bfe_u32 v16, v8, 20, 11
	v_add_nc_u32_e32 v17, 0xfffffc10, v21
	v_and_or_b32 v11, 0x8000, v11, v12
	v_cndmask_b32_e64 v14, 0, 1, s0
	v_cmp_ne_u32_e64 s0, 0, v7
	v_fma_f16 v13, v79, v19, -v13
	v_add_nc_u32_e32 v19, 0xfffffc10, v16
	v_or_b32_e32 v12, v20, v14
	v_cndmask_b32_e64 v7, 0, 1, s0
	v_lshl_or_b32 v14, v17, 12, v0
	v_cmp_gt_i32_e64 s0, 1, v17
	v_and_b32_e32 v20, 0xffff, v23
	v_cvt_f32_f16_e32 v13, v13
	v_and_or_b32 v7, 0xffe, v15, v7
	v_sub_nc_u32_e32 v15, 0x3f1, v16
	v_cndmask_b32_e64 v14, v14, v12, s0
	v_add_co_u32 v5, s0, v5, s6
	v_or_b32_e32 v21, 0x1000, v7
	v_med3_i32 v15, v15, 0, 13
	v_add_co_ci_u32_e64 v6, s0, s7, v6, s0
	v_and_b32_e32 v22, 7, v14
	v_mul_f64 v[9:10], v[9:10], s[4:5]
	v_lshrrev_b32_e32 v23, v15, v21
	v_lshl_or_b32 v20, v11, 16, v20
	v_add_co_u32 v11, s0, v5, s6
	v_add_co_ci_u32_e64 v12, s0, s7, v6, s0
	v_lshlrev_b32_e32 v15, v15, v23
	v_cmp_lt_i32_e64 s0, 5, v22
	v_cmp_eq_u32_e64 s1, 3, v22
	v_lshrrev_b32_e32 v14, 2, v14
	v_cmp_ne_u32_e64 s2, v15, v21
	s_or_b32 s0, s1, s0
	v_add_co_ci_u32_e64 v21, s0, 0, v14, s0
	v_cndmask_b32_e64 v15, 0, 1, s2
	v_cmp_ne_u32_e64 s0, 0, v0
	v_cvt_f64_f32_e32 v[13:14], v13
	v_and_or_b32 v9, 0x1ff, v10, v9
	v_or_b32_e32 v22, v23, v15
	v_lshl_or_b32 v23, v19, 12, v7
	v_cndmask_b32_e64 v0, 0, 1, s0
	v_cmp_gt_i32_e64 s0, 1, v19
	ds_read2_b32 v[15:16], v45 offset0:44 offset1:69
	v_lshrrev_b32_e32 v24, 8, v10
	v_bfe_u32 v25, v10, 20, 11
	v_lshl_or_b32 v0, v0, 9, 0x7c00
	v_cndmask_b32_e64 v22, v23, v22, s0
	v_cmp_gt_i32_e64 s0, 31, v17
	global_store_dword v[5:6], v18, off
	global_store_dword v[11:12], v20, off
	v_lshrrev_b32_e32 v10, 16, v10
	v_and_b32_e32 v23, 7, v22
	v_cndmask_b32_e64 v21, 0x7c00, v21, s0
	v_cmp_ne_u32_e64 s0, 0, v9
	v_cmp_eq_u32_e64 s1, 3, v23
	v_cndmask_b32_e64 v9, 0, 1, s0
	v_cmp_eq_u32_e64 s0, 0x40f, v17
	v_and_or_b32 v9, 0xffe, v24, v9
	v_cndmask_b32_e64 v17, v21, v0, s0
	v_cmp_lt_i32_e64 s0, 5, v23
	v_lshrrev_b32_e32 v21, 16, v1
	v_mul_f64 v[0:1], v[13:14], s[4:5]
	v_lshrrev_b32_e32 v14, 2, v22
	v_sub_nc_u32_e32 v24, 0x3f1, v25
	s_or_b32 s0, s1, s0
	v_or_b32_e32 v22, 0x1000, v9
	s_waitcnt lgkmcnt(0)
	v_lshrrev_b32_e32 v13, 16, v15
	v_add_co_ci_u32_e64 v14, s0, 0, v14, s0
	v_med3_i32 v23, v24, 0, 13
	v_cmp_ne_u32_e64 s0, 0, v7
	v_mul_f16_sdwa v24, v78, v13 dst_sel:DWORD dst_unused:UNUSED_PAD src0_sel:WORD_1 src1_sel:DWORD
	v_and_or_b32 v17, 0x8000, v21, v17
	v_lshrrev_b32_e32 v26, v23, v22
	v_cndmask_b32_e64 v7, 0, 1, s0
	v_cmp_gt_i32_e64 s0, 31, v19
	v_fmac_f16_e32 v24, v78, v15
	v_and_b32_e32 v17, 0xffff, v17
	v_lshlrev_b32_e32 v21, v23, v26
	v_lshl_or_b32 v7, v7, 9, 0x7c00
	v_cndmask_b32_e64 v14, 0x7c00, v14, s0
	v_cmp_eq_u32_e64 s0, 0x40f, v19
	v_and_or_b32 v0, 0x1ff, v1, v0
	v_cvt_f32_f16_e32 v23, v24
	v_lshrrev_b32_e32 v19, 16, v8
	v_bfe_u32 v24, v1, 20, 11
	v_cndmask_b32_e64 v14, v14, v7, s0
	v_cmp_ne_u32_e64 s0, v21, v22
	v_cvt_f64_f32_e32 v[7:8], v23
	v_add_nc_u32_e32 v22, 0xfffffc10, v25
	v_lshrrev_b32_e32 v23, 8, v1
	v_and_or_b32 v14, 0x8000, v19, v14
	v_cndmask_b32_e64 v21, 0, 1, s0
	v_cmp_ne_u32_e64 s0, 0, v0
	v_lshl_or_b32 v14, v14, 16, v17
	v_or_b32_e32 v19, v26, v21
	v_cndmask_b32_e64 v0, 0, 1, s0
	v_lshl_or_b32 v21, v22, 12, v9
	v_cmp_gt_i32_e64 s0, 1, v22
	v_and_or_b32 v0, 0xffe, v23, v0
	v_sub_nc_u32_e32 v23, 0x3f1, v24
	v_cndmask_b32_e64 v19, v21, v19, s0
	v_or_b32_e32 v21, 0x1000, v0
	v_med3_i32 v23, v23, 0, 13
	v_and_b32_e32 v17, 7, v19
	v_mul_f64 v[5:6], v[7:8], s[4:5]
	v_add_co_u32 v7, s0, v11, s6
	v_lshrrev_b32_e32 v18, v23, v21
	v_add_co_ci_u32_e64 v8, s0, s7, v12, s0
	v_cmp_lt_i32_e64 s0, 5, v17
	v_cmp_eq_u32_e64 s1, 3, v17
	v_lshlrev_b32_e32 v11, v23, v18
	v_mul_f16_sdwa v12, v78, v15 dst_sel:DWORD dst_unused:UNUSED_PAD src0_sel:WORD_1 src1_sel:DWORD
	v_lshrrev_b32_e32 v15, 2, v19
	global_store_dword v[7:8], v14, off
	s_or_b32 s0, s1, s0
	v_cmp_ne_u32_e64 s2, v11, v21
	v_fma_f16 v12, v78, v13, -v12
	v_add_co_ci_u32_e64 v15, s0, 0, v15, s0
	v_add_nc_u32_e32 v13, 0xfffffc10, v24
	v_cndmask_b32_e64 v11, 0, 1, s2
	v_cmp_ne_u32_e64 s0, 0, v9
	v_cvt_f32_f16_e32 v12, v12
	v_and_or_b32 v5, 0x1ff, v6, v5
	v_or_b32_e32 v17, v18, v11
	v_lshl_or_b32 v18, v13, 12, v0
	v_cndmask_b32_e64 v9, 0, 1, s0
	v_cmp_gt_i32_e64 s0, 1, v13
	v_cvt_f64_f32_e32 v[11:12], v12
	v_lshrrev_b32_e32 v19, 8, v6
	v_bfe_u32 v20, v6, 20, 11
	v_lshl_or_b32 v9, v9, 9, 0x7c00
	v_cndmask_b32_e64 v17, v18, v17, s0
	v_cmp_gt_i32_e64 s0, 31, v22
	v_and_b32_e32 v18, 7, v17
	v_cndmask_b32_e64 v15, 0x7c00, v15, s0
	v_cmp_ne_u32_e64 s0, 0, v5
	v_lshrrev_b32_e32 v17, 2, v17
	v_cmp_eq_u32_e64 s1, 3, v18
	v_cndmask_b32_e64 v5, 0, 1, s0
	v_cmp_eq_u32_e64 s0, 0x40f, v22
	v_and_or_b32 v5, 0xffe, v19, v5
	v_cndmask_b32_e64 v9, v15, v9, s0
	v_cmp_lt_i32_e64 s0, 5, v18
	v_lshrrev_b32_e32 v18, 16, v16
	v_mul_f64 v[11:12], v[11:12], s[4:5]
	v_sub_nc_u32_e32 v15, 0x3f1, v20
	v_or_b32_e32 v19, 0x1000, v5
	s_or_b32 s0, s1, s0
	v_mul_f16_sdwa v21, v77, v18 dst_sel:DWORD dst_unused:UNUSED_PAD src0_sel:WORD_1 src1_sel:DWORD
	v_add_co_ci_u32_e64 v17, s0, 0, v17, s0
	v_cmp_ne_u32_e64 s0, 0, v0
	v_med3_i32 v15, v15, 0, 13
	v_fmac_f16_e32 v21, v77, v16
	v_and_or_b32 v9, 0x8000, v10, v9
	v_mul_f16_sdwa v16, v77, v16 dst_sel:DWORD dst_unused:UNUSED_PAD src0_sel:WORD_1 src1_sel:DWORD
	v_cndmask_b32_e64 v0, 0, 1, s0
	v_cmp_gt_i32_e64 s0, 31, v13
	v_lshrrev_b32_e32 v22, v15, v19
	v_cvt_f32_f16_e32 v21, v21
	v_and_b32_e32 v9, 0xffff, v9
	v_lshl_or_b32 v0, v0, 9, 0x7c00
	v_cndmask_b32_e64 v17, 0x7c00, v17, s0
	v_cmp_eq_u32_e64 s0, 0x40f, v13
	v_lshlrev_b32_e32 v15, v15, v22
	v_and_or_b32 v11, 0x1ff, v12, v11
	v_cndmask_b32_e64 v13, v17, v0, s0
	v_lshrrev_b32_e32 v17, 16, v1
	v_cvt_f64_f32_e32 v[0:1], v21
	v_cmp_ne_u32_e64 s0, v15, v19
	v_add_nc_u32_e32 v19, 0xfffffc10, v20
	v_bfe_u32 v20, v12, 20, 11
	v_and_or_b32 v10, 0x8000, v17, v13
	v_lshrrev_b32_e32 v17, 8, v12
	v_cndmask_b32_e64 v15, 0, 1, s0
	v_cmp_ne_u32_e64 s0, 0, v11
	v_sub_nc_u32_e32 v14, 0x3f1, v20
	v_lshl_or_b32 v9, v10, 16, v9
	v_lshrrev_b32_e32 v12, 16, v12
	v_or_b32_e32 v13, v22, v15
	v_cndmask_b32_e64 v11, 0, 1, s0
	v_lshl_or_b32 v15, v19, 12, v5
	v_cmp_gt_i32_e64 s0, 1, v19
	v_med3_i32 v14, v14, 0, 13
	v_and_or_b32 v11, 0xffe, v17, v11
	v_cndmask_b32_e64 v13, v15, v13, s0
	v_add_co_u32 v7, s0, v7, s6
	v_mul_f64 v[0:1], v[0:1], s[4:5]
	v_or_b32_e32 v15, 0x1000, v11
	v_and_b32_e32 v10, 7, v13
	v_add_co_ci_u32_e64 v8, s0, s7, v8, s0
	v_lshrrev_b32_e32 v17, v14, v15
	v_cmp_lt_i32_e64 s0, 5, v10
	v_cmp_eq_u32_e64 s1, 3, v10
	global_store_dword v[7:8], v9, off
	v_lshrrev_b32_e32 v9, 2, v13
	v_lshlrev_b32_e32 v13, v14, v17
	v_fma_f16 v14, v77, v18, -v16
	s_or_b32 s0, s1, s0
	v_add_nc_u32_e32 v18, 0xfffffc10, v20
	v_add_co_ci_u32_e64 v16, s0, 0, v9, s0
	v_cmp_ne_u32_e64 s0, v13, v15
	ds_read2_b32 v[9:10], v45 offset0:94 offset1:119
	v_cvt_f32_f16_e32 v13, v14
	v_cndmask_b32_e64 v15, 0, 1, s0
	v_and_or_b32 v0, 0x1ff, v1, v0
	v_cmp_gt_i32_e64 s0, 31, v19
	v_cvt_f64_f32_e32 v[13:14], v13
	v_lshrrev_b32_e32 v20, 8, v1
	v_or_b32_e32 v15, v17, v15
	v_lshl_or_b32 v17, v18, 12, v11
	v_cndmask_b32_e64 v16, 0x7c00, v16, s0
	v_cmp_ne_u32_e64 s0, 0, v0
	v_bfe_u32 v21, v1, 20, 11
	v_cndmask_b32_e64 v0, 0, 1, s0
	v_cmp_ne_u32_e64 s0, 0, v5
	v_and_or_b32 v0, 0xffe, v20, v0
	v_cndmask_b32_e64 v5, 0, 1, s0
	v_cmp_gt_i32_e64 s0, 1, v18
	s_waitcnt lgkmcnt(0)
	v_lshrrev_b32_e32 v20, 16, v9
	v_or_b32_e32 v23, 0x1000, v0
	v_lshl_or_b32 v5, v5, 9, 0x7c00
	v_cndmask_b32_e64 v15, v17, v15, s0
	v_sub_nc_u32_e32 v17, 0x3f1, v21
	v_cmp_eq_u32_e64 s0, 0x40f, v19
	v_mul_f16_sdwa v24, v76, v20 dst_sel:DWORD dst_unused:UNUSED_PAD src0_sel:WORD_1 src1_sel:DWORD
	v_mul_f64 v[13:14], v[13:14], s[4:5]
	v_and_b32_e32 v22, 7, v15
	v_med3_i32 v17, v17, 0, 13
	v_cndmask_b32_e64 v16, v16, v5, s0
	v_lshrrev_b32_e32 v5, 2, v15
	v_fmac_f16_e32 v24, v76, v9
	v_cmp_lt_i32_e64 s0, 5, v22
	v_cmp_eq_u32_e64 s1, 3, v22
	v_lshrrev_b32_e32 v19, v17, v23
	v_lshrrev_b32_e32 v22, 16, v6
	v_cvt_f32_f16_e32 v6, v24
	v_add_nc_u32_e32 v21, 0xfffffc10, v21
	s_or_b32 s0, s1, s0
	v_lshlrev_b32_e32 v15, v17, v19
	v_add_co_ci_u32_e64 v17, s0, 0, v5, s0
	v_cmp_ne_u32_e64 s0, 0, v11
	v_cvt_f64_f32_e32 v[5:6], v6
	v_and_or_b32 v16, 0x8000, v22, v16
	v_mul_f16_sdwa v9, v76, v9 dst_sel:DWORD dst_unused:UNUSED_PAD src0_sel:WORD_1 src1_sel:DWORD
	v_lshrrev_b32_e32 v24, 16, v10
	v_cndmask_b32_e64 v11, 0, 1, s0
	v_cmp_ne_u32_e64 s0, v15, v23
	v_and_or_b32 v13, 0x1ff, v14, v13
	v_and_b32_e32 v16, 0xffff, v16
	v_fma_f16 v9, v76, v20, -v9
	v_lshl_or_b32 v11, v11, 9, 0x7c00
	v_cndmask_b32_e64 v15, 0, 1, s0
	v_cmp_gt_i32_e64 s0, 31, v18
	v_cvt_f32_f16_e32 v9, v9
	v_or_b32_e32 v15, v19, v15
	v_cndmask_b32_e64 v17, 0x7c00, v17, s0
	v_cmp_eq_u32_e64 s0, 0x40f, v18
	v_lshl_or_b32 v19, v21, 12, v0
	v_bfe_u32 v18, v14, 20, 11
	v_cndmask_b32_e64 v11, v17, v11, s0
	v_cmp_gt_i32_e64 s0, 1, v21
	v_lshrrev_b32_e32 v17, 8, v14
	v_mul_f64 v[5:6], v[5:6], s[4:5]
	v_lshrrev_b32_e32 v14, 16, v14
	v_and_or_b32 v11, 0x8000, v12, v11
	v_cndmask_b32_e64 v15, v19, v15, s0
	v_cmp_ne_u32_e64 s0, 0, v13
	v_lshl_or_b32 v16, v11, 16, v16
	v_and_b32_e32 v19, 7, v15
	v_cndmask_b32_e64 v13, 0, 1, s0
	v_lshrrev_b32_e32 v15, 2, v15
	v_cmp_lt_i32_e64 s0, 5, v19
	v_and_or_b32 v13, 0xffe, v17, v13
	v_sub_nc_u32_e32 v17, 0x3f1, v18
	v_cmp_eq_u32_e64 s1, 3, v19
	v_or_b32_e32 v12, 0x1000, v13
	v_med3_i32 v17, v17, 0, 13
	s_or_b32 s0, s1, s0
	v_and_or_b32 v5, 0x1ff, v6, v5
	v_add_co_ci_u32_e64 v15, s0, 0, v15, s0
	v_lshrrev_b32_e32 v19, v17, v12
	v_cmp_gt_i32_e64 s0, 31, v21
	v_bfe_u32 v20, v6, 20, 11
	v_lshlrev_b32_e32 v11, v17, v19
	v_cndmask_b32_e64 v15, 0x7c00, v15, s0
	v_cmp_ne_u32_e64 s0, v11, v12
	v_cvt_f64_f32_e32 v[11:12], v9
	v_add_nc_u32_e32 v9, 0xfffffc10, v18
	v_lshrrev_b32_e32 v18, 8, v6
	v_cndmask_b32_e64 v17, 0, 1, s0
	v_cmp_ne_u32_e64 s0, 0, v5
	v_or_b32_e32 v17, v19, v17
	v_cndmask_b32_e64 v5, 0, 1, s0
	v_cmp_ne_u32_e64 s0, 0, v0
	v_lshl_or_b32 v19, v9, 12, v13
	v_and_or_b32 v5, 0xffe, v18, v5
	v_cndmask_b32_e64 v0, 0, 1, s0
	v_cmp_gt_i32_e64 s0, 1, v9
	v_sub_nc_u32_e32 v18, 0x3f1, v20
	v_lshl_or_b32 v0, v0, 9, 0x7c00
	v_cndmask_b32_e64 v17, v19, v17, s0
	v_cmp_eq_u32_e64 s0, 0x40f, v21
	v_or_b32_e32 v19, 0x1000, v5
	v_med3_i32 v18, v18, 0, 13
	v_lshrrev_b32_e32 v21, 16, v1
	v_and_b32_e32 v22, 7, v17
	v_cndmask_b32_e64 v15, v15, v0, s0
	v_mul_f64 v[0:1], v[11:12], s[4:5]
	v_lshrrev_b32_e32 v23, v18, v19
	v_add_co_u32 v7, s0, v7, s6
	v_add_co_ci_u32_e64 v8, s0, s7, v8, s0
	v_lshlrev_b32_e32 v12, v18, v23
	v_mul_f16_sdwa v11, v75, v24 dst_sel:DWORD dst_unused:UNUSED_PAD src0_sel:WORD_1 src1_sel:DWORD
	v_cmp_lt_i32_e64 s0, 5, v22
	v_cmp_eq_u32_e64 s1, 3, v22
	v_lshrrev_b32_e32 v17, 2, v17
	v_cmp_ne_u32_e64 s2, v12, v19
	v_fmac_f16_e32 v11, v75, v10
	v_add_nc_u32_e32 v18, 0xfffffc10, v20
	s_or_b32 s0, s1, s0
	v_and_or_b32 v15, 0x8000, v21, v15
	v_add_co_ci_u32_e64 v17, s0, 0, v17, s0
	v_cndmask_b32_e64 v12, 0, 1, s2
	v_cmp_ne_u32_e64 s0, 0, v13
	v_cvt_f32_f16_e32 v11, v11
	v_lshl_or_b32 v20, v18, 12, v5
	v_and_or_b32 v0, 0x1ff, v1, v0
	v_or_b32_e32 v19, v23, v12
	v_cndmask_b32_e64 v13, 0, 1, s0
	v_cmp_gt_i32_e64 s0, 1, v18
	v_cvt_f64_f32_e32 v[11:12], v11
	v_bfe_u32 v21, v1, 20, 11
	v_and_b32_e32 v15, 0xffff, v15
	v_lshl_or_b32 v13, v13, 9, 0x7c00
	v_cndmask_b32_e64 v19, v20, v19, s0
	v_cmp_ne_u32_e64 s0, 0, v0
	v_lshrrev_b32_e32 v20, 8, v1
	v_mul_f16_sdwa v10, v75, v10 dst_sel:DWORD dst_unused:UNUSED_PAD src0_sel:WORD_1 src1_sel:DWORD
	v_and_b32_e32 v22, 7, v19
	v_cndmask_b32_e64 v0, 0, 1, s0
	v_cmp_gt_i32_e64 s0, 31, v9
	v_fma_f16 v10, v75, v24, -v10
	v_cmp_eq_u32_e64 s1, 3, v22
	v_and_or_b32 v0, 0xffe, v20, v0
	v_cndmask_b32_e64 v17, 0x7c00, v17, s0
	v_cmp_eq_u32_e64 s0, 0x40f, v9
	ds_read_b32 v20, v72 offset:1600
	v_cndmask_b32_e64 v9, v17, v13, s0
	v_sub_nc_u32_e32 v13, 0x3f1, v21
	v_cmp_lt_i32_e64 s0, 5, v22
	v_mul_f64 v[11:12], v[11:12], s[4:5]
	v_or_b32_e32 v17, 0x1000, v0
	v_and_or_b32 v9, 0x8000, v14, v9
	v_lshrrev_b32_e32 v14, 2, v19
	v_med3_i32 v13, v13, 0, 13
	s_or_b32 s0, s1, s0
	v_lshl_or_b32 v15, v9, 16, v15
	v_add_co_ci_u32_e64 v14, s0, 0, v14, s0
	v_lshrrev_b32_e32 v19, v13, v17
	v_cmp_ne_u32_e64 s0, 0, v5
	v_lshlrev_b32_e32 v9, v13, v19
	v_cndmask_b32_e64 v5, 0, 1, s0
	v_cmp_gt_i32_e64 s0, 31, v18
	v_lshl_or_b32 v5, v5, 9, 0x7c00
	v_cndmask_b32_e64 v13, 0x7c00, v14, s0
	v_cmp_ne_u32_e64 s0, v9, v17
	v_and_or_b32 v11, 0x1ff, v12, v11
	v_add_nc_u32_e32 v17, 0xfffffc10, v21
	v_lshrrev_b32_e32 v21, 16, v6
	v_cndmask_b32_e64 v9, 0, 1, s0
	v_cmp_eq_u32_e64 s0, 0x40f, v18
	v_lshl_or_b32 v14, v17, 12, v0
	v_lshrrev_b32_e32 v18, 8, v12
	v_cndmask_b32_e64 v13, v13, v5, s0
	v_cmp_ne_u32_e64 s0, 0, v11
	v_or_b32_e32 v5, v19, v9
	v_cvt_f32_f16_e32 v9, v10
	v_bfe_u32 v19, v12, 20, 11
	v_and_or_b32 v21, 0x8000, v21, v13
	v_cndmask_b32_e64 v11, 0, 1, s0
	v_cmp_gt_i32_e64 s0, 1, v17
	v_cvt_f64_f32_e32 v[9:10], v9
	v_lshrrev_b32_e32 v12, 16, v12
	v_and_or_b32 v11, 0xffe, v18, v11
	v_cndmask_b32_e64 v14, v14, v5, s0
	v_sub_nc_u32_e32 v5, 0x3f1, v19
	s_waitcnt lgkmcnt(0)
	v_lshrrev_b32_e32 v18, 16, v20
	v_add_nc_u32_e32 v19, 0xfffffc10, v19
	v_or_b32_e32 v23, 0x1000, v11
	v_and_b32_e32 v22, 7, v14
	v_med3_i32 v24, v5, 0, 13
	v_mul_f16_sdwa v25, v74, v18 dst_sel:DWORD dst_unused:UNUSED_PAD src0_sel:WORD_1 src1_sel:DWORD
	v_add_co_u32 v5, s0, v7, s6
	v_add_co_ci_u32_e64 v6, s0, s7, v8, s0
	v_lshrrev_b32_e32 v26, v24, v23
	v_fmac_f16_e32 v25, v74, v20
	v_cmp_lt_i32_e64 s0, 5, v22
	v_cmp_eq_u32_e64 s1, 3, v22
	v_lshrrev_b32_e32 v13, 2, v14
	v_lshlrev_b32_e32 v22, v24, v26
	v_cvt_f32_f16_e32 v14, v25
	v_mul_f64 v[9:10], v[9:10], s[4:5]
	s_or_b32 s0, s1, s0
	v_mul_f16_sdwa v20, v74, v20 dst_sel:DWORD dst_unused:UNUSED_PAD src0_sel:WORD_1 src1_sel:DWORD
	v_add_co_ci_u32_e64 v24, s0, 0, v13, s0
	v_cmp_ne_u32_e64 s0, v22, v23
	v_cvt_f64_f32_e32 v[13:14], v14
	v_lshl_or_b32 v23, v19, 12, v11
	v_fma_f16 v18, v74, v18, -v20
	v_cndmask_b32_e64 v22, 0, 1, s0
	v_cmp_ne_u32_e64 s0, 0, v0
	v_cvt_f32_f16_e32 v18, v18
	v_or_b32_e32 v22, v26, v22
	v_cndmask_b32_e64 v0, 0, 1, s0
	v_cmp_gt_i32_e64 s0, 31, v17
	v_lshl_or_b32 v0, v0, 9, 0x7c00
	v_cndmask_b32_e64 v20, 0x7c00, v24, s0
	v_cmp_gt_i32_e64 s0, 1, v19
	v_and_or_b32 v9, 0x1ff, v10, v9
	v_bfe_u32 v24, v10, 20, 11
	v_cndmask_b32_e64 v22, v23, v22, s0
	v_cmp_eq_u32_e64 s0, 0x40f, v17
	v_mul_f64 v[13:14], v[13:14], s[4:5]
	v_lshrrev_b32_e32 v23, 8, v10
	v_lshrrev_b32_e32 v10, 16, v10
	v_cndmask_b32_e64 v17, v20, v0, s0
	v_lshrrev_b32_e32 v20, 16, v1
	v_cvt_f64_f32_e32 v[0:1], v18
	v_cmp_ne_u32_e64 s0, 0, v9
	v_and_b32_e32 v18, 7, v22
	v_and_or_b32 v17, 0x8000, v20, v17
	v_and_b32_e32 v20, 0xffff, v21
	v_cndmask_b32_e64 v9, 0, 1, s0
	v_cmp_lt_i32_e64 s0, 5, v18
	v_cmp_eq_u32_e64 s1, 3, v18
	v_lshrrev_b32_e32 v18, 2, v22
	v_sub_nc_u32_e32 v21, 0x3f1, v24
	v_and_or_b32 v9, 0xffe, v23, v9
	v_lshl_or_b32 v17, v17, 16, v20
	s_or_b32 s0, s1, s0
	v_add_co_ci_u32_e64 v18, s0, 0, v18, s0
	v_or_b32_e32 v20, 0x1000, v9
	v_med3_i32 v21, v21, 0, 13
	v_cmp_ne_u32_e64 s0, 0, v11
	v_and_or_b32 v13, 0x1ff, v14, v13
	v_lshrrev_b32_e32 v23, 8, v14
	v_mul_f64 v[0:1], v[0:1], s[4:5]
	v_lshrrev_b32_e32 v22, v21, v20
	v_cndmask_b32_e64 v11, 0, 1, s0
	v_cmp_gt_i32_e64 s0, 31, v19
	v_bfe_u32 v25, v14, 20, 11
	v_lshrrev_b32_e32 v14, 16, v14
	v_lshlrev_b32_e32 v21, v21, v22
	v_lshl_or_b32 v11, v11, 9, 0x7c00
	v_cndmask_b32_e64 v18, 0x7c00, v18, s0
	v_cmp_ne_u32_e64 s0, 0, v13
	v_cndmask_b32_e64 v13, 0, 1, s0
	v_cmp_ne_u32_e64 s0, v21, v20
	v_add_nc_u32_e32 v21, 0xfffffc10, v24
	v_and_or_b32 v13, 0xffe, v23, v13
	v_cndmask_b32_e64 v20, 0, 1, s0
	v_sub_nc_u32_e32 v23, 0x3f1, v25
	v_cmp_eq_u32_e64 s0, 0x40f, v19
	v_lshl_or_b32 v19, v21, 12, v9
	v_and_or_b32 v0, 0x1ff, v1, v0
	v_bfe_u32 v24, v1, 20, 11
	v_cndmask_b32_e64 v11, v18, v11, s0
	v_or_b32_e32 v18, v22, v20
	v_or_b32_e32 v20, 0x1000, v13
	v_med3_i32 v22, v23, 0, 13
	v_cmp_gt_i32_e64 s0, 1, v21
	v_lshrrev_b32_e32 v23, 8, v1
	v_and_or_b32 v11, 0x8000, v12, v11
	v_sub_nc_u32_e32 v12, 0x3f1, v24
	v_lshrrev_b32_e32 v1, 16, v1
	v_cndmask_b32_e64 v18, v19, v18, s0
	v_lshrrev_b32_e32 v19, v22, v20
	v_cmp_ne_u32_e64 s0, 0, v0
	v_med3_i32 v12, v12, 0, 13
	v_and_b32_e32 v11, 0xffff, v11
	v_and_b32_e32 v26, 7, v18
	v_lshlrev_b32_e32 v22, v22, v19
	v_cndmask_b32_e64 v0, 0, 1, s0
	v_lshrrev_b32_e32 v18, 2, v18
	v_cmp_lt_i32_e64 s0, 5, v26
	v_cmp_ne_u32_e64 s1, v22, v20
	v_and_or_b32 v0, 0xffe, v23, v0
	v_add_nc_u32_e32 v23, 0xfffffc10, v25
	v_cndmask_b32_e64 v20, 0, 1, s1
	v_cmp_eq_u32_e64 s1, 3, v26
	v_or_b32_e32 v22, 0x1000, v0
	v_lshl_or_b32 v25, v23, 12, v13
	v_or_b32_e32 v19, v19, v20
	s_or_b32 s0, s1, s0
	v_lshrrev_b32_e32 v20, v12, v22
	v_add_co_ci_u32_e64 v18, s0, 0, v18, s0
	v_cmp_gt_i32_e64 s0, 1, v23
	v_lshlrev_b32_e32 v12, v12, v20
	v_cndmask_b32_e64 v19, v25, v19, s0
	v_cmp_ne_u32_e64 s0, 0, v9
	v_cndmask_b32_e64 v9, 0, 1, s0
	v_cmp_ne_u32_e64 s0, v12, v22
	v_add_nc_u32_e32 v22, 0xfffffc10, v24
	v_and_b32_e32 v24, 7, v19
	v_lshl_or_b32 v9, v9, 9, 0x7c00
	v_cndmask_b32_e64 v12, 0, 1, s0
	v_cmp_gt_i32_e64 s0, 31, v21
	v_cmp_gt_i32_e64 s2, 1, v22
	v_cmp_eq_u32_e64 s1, 3, v24
	v_or_b32_e32 v12, v20, v12
	v_lshl_or_b32 v20, v22, 12, v0
	v_cndmask_b32_e64 v18, 0x7c00, v18, s0
	v_cmp_lt_i32_e64 s0, 5, v24
	v_cndmask_b32_e64 v12, v20, v12, s2
	v_cmp_eq_u32_e64 s2, 0x40f, v21
	s_or_b32 s0, s1, s0
	v_cndmask_b32_e64 v9, v18, v9, s2
	v_lshrrev_b32_e32 v18, 2, v19
	v_and_b32_e32 v19, 7, v12
	v_lshrrev_b32_e32 v12, 2, v12
	v_cmp_gt_i32_e64 s2, 31, v23
	v_add_co_ci_u32_e64 v18, s0, 0, v18, s0
	v_cmp_ne_u32_e64 s0, 0, v13
	v_cmp_eq_u32_e64 s1, 3, v19
	v_cndmask_b32_e64 v18, 0x7c00, v18, s2
	v_cndmask_b32_e64 v13, 0, 1, s0
	v_cmp_lt_i32_e64 s0, 5, v19
	v_lshl_or_b32 v13, v13, 9, 0x7c00
	s_or_b32 s0, s1, s0
	v_add_co_ci_u32_e64 v12, s0, 0, v12, s0
	v_cmp_ne_u32_e64 s0, 0, v0
	v_cndmask_b32_e64 v0, 0, 1, s0
	v_cmp_eq_u32_e64 s0, 0x40f, v23
	v_lshl_or_b32 v0, v0, 9, 0x7c00
	v_cndmask_b32_e64 v13, v18, v13, s0
	v_cmp_gt_i32_e64 s0, 31, v22
	v_and_or_b32 v18, 0x8000, v10, v9
	v_and_or_b32 v13, 0x8000, v14, v13
	v_cndmask_b32_e64 v12, 0x7c00, v12, s0
	v_cmp_eq_u32_e64 s0, 0x40f, v22
	v_lshl_or_b32 v14, v18, 16, v11
	v_cndmask_b32_e64 v0, v12, v0, s0
	v_add_co_u32 v9, s0, v5, s6
	v_add_co_ci_u32_e64 v10, s0, s7, v6, s0
	v_and_or_b32 v0, 0x8000, v1, v0
	v_and_b32_e32 v1, 0xffff, v13
	v_add_co_u32 v11, s0, v9, s6
	v_add_co_ci_u32_e64 v12, s0, s7, v10, s0
	v_lshl_or_b32 v13, v0, 16, v1
	v_add_co_u32 v0, s0, v11, s6
	v_add_co_ci_u32_e64 v1, s0, s7, v12, s0
	global_store_dword v[7:8], v16, off
	global_store_dword v[5:6], v15, off
	;; [unrolled: 1-line block ×5, first 2 shown]
	s_and_b32 exec_lo, exec_lo, vcc_lo
	s_cbranch_execz .LBB0_15
; %bb.14:
	global_load_dword v5, v[36:37], off offset:68
	ds_read_b32 v6, v93 offset:68
	v_mad_u64_u32 v[0:1], null, 0xfffffa04, s8, v[0:1]
	buffer_load_dword v21, off, s[20:23], 0 offset:4 ; 4-byte Folded Reload
	s_mul_i32 s3, s9, 0xc8
	s_waitcnt lgkmcnt(0)
	v_lshrrev_b32_e32 v7, 16, v6
	s_waitcnt vmcnt(1)
	v_mul_f16_sdwa v8, v7, v5 dst_sel:DWORD dst_unused:UNUSED_PAD src0_sel:DWORD src1_sel:WORD_1
	v_mul_f16_sdwa v9, v6, v5 dst_sel:DWORD dst_unused:UNUSED_PAD src0_sel:DWORD src1_sel:WORD_1
	v_fmac_f16_e32 v8, v6, v5
	v_fma_f16 v5, v5, v7, -v9
	v_cvt_f32_f16_e32 v6, v8
	v_cvt_f32_f16_e32 v7, v5
	v_cvt_f64_f32_e32 v[5:6], v6
	v_cvt_f64_f32_e32 v[7:8], v7
	v_mul_f64 v[5:6], v[5:6], s[4:5]
	v_mul_f64 v[7:8], v[7:8], s[4:5]
	v_and_or_b32 v5, 0x1ff, v6, v5
	v_and_or_b32 v7, 0x1ff, v8, v7
	v_lshrrev_b32_e32 v9, 8, v6
	v_bfe_u32 v10, v6, 20, 11
	v_lshrrev_b32_e32 v11, 8, v8
	v_cmp_ne_u32_e32 vcc_lo, 0, v5
	v_bfe_u32 v12, v8, 20, 11
	v_lshrrev_b32_e32 v6, 16, v6
	v_sub_nc_u32_e32 v13, 0x3f1, v10
	v_add_nc_u32_e32 v10, 0xfffffc10, v10
	v_cndmask_b32_e64 v5, 0, 1, vcc_lo
	v_cmp_ne_u32_e32 vcc_lo, 0, v7
	v_lshrrev_b32_e32 v8, 16, v8
	v_and_or_b32 v5, 0xffe, v9, v5
	v_cndmask_b32_e64 v7, 0, 1, vcc_lo
	v_sub_nc_u32_e32 v9, 0x3f1, v12
	v_add_nc_u32_e32 v12, 0xfffffc10, v12
	v_and_or_b32 v7, 0xffe, v11, v7
	v_med3_i32 v11, v13, 0, 13
	v_or_b32_e32 v13, 0x1000, v5
	v_med3_i32 v9, v9, 0, 13
	v_or_b32_e32 v14, 0x1000, v7
	v_lshrrev_b32_e32 v15, v11, v13
	v_lshrrev_b32_e32 v16, v9, v14
	v_lshlrev_b32_e32 v11, v11, v15
	v_lshlrev_b32_e32 v9, v9, v16
	v_cmp_ne_u32_e32 vcc_lo, v11, v13
	v_lshl_or_b32 v13, v10, 12, v5
	v_cndmask_b32_e64 v11, 0, 1, vcc_lo
	v_cmp_ne_u32_e32 vcc_lo, v9, v14
	v_lshl_or_b32 v14, v12, 12, v7
	v_or_b32_e32 v11, v15, v11
	v_cndmask_b32_e64 v9, 0, 1, vcc_lo
	v_cmp_gt_i32_e32 vcc_lo, 1, v10
	v_or_b32_e32 v9, v16, v9
	v_cndmask_b32_e32 v11, v13, v11, vcc_lo
	v_cmp_gt_i32_e32 vcc_lo, 1, v12
	v_and_b32_e32 v13, 7, v11
	v_cndmask_b32_e32 v9, v14, v9, vcc_lo
	v_cmp_ne_u32_e32 vcc_lo, 0, v5
	v_lshrrev_b32_e32 v11, 2, v11
	v_cmp_eq_u32_e64 s0, 3, v13
	v_and_b32_e32 v14, 7, v9
	v_cndmask_b32_e64 v5, 0, 1, vcc_lo
	v_cmp_ne_u32_e32 vcc_lo, 0, v7
	v_lshrrev_b32_e32 v9, 2, v9
	v_cmp_lt_i32_e64 s1, 5, v14
	v_cmp_eq_u32_e64 s2, 3, v14
	v_cndmask_b32_e64 v7, 0, 1, vcc_lo
	v_cmp_lt_i32_e32 vcc_lo, 5, v13
	v_lshl_or_b32 v5, v5, 9, 0x7c00
	v_lshl_or_b32 v7, v7, 9, 0x7c00
	s_or_b32 vcc_lo, s0, vcc_lo
	s_mul_i32 s0, s9, 0xfffffa04
	v_add_co_ci_u32_e32 v11, vcc_lo, 0, v11, vcc_lo
	s_or_b32 vcc_lo, s2, s1
	s_sub_i32 s0, s0, s8
	v_add_co_ci_u32_e32 v9, vcc_lo, 0, v9, vcc_lo
	v_cmp_gt_i32_e32 vcc_lo, 31, v10
	v_add_nc_u32_e32 v1, s0, v1
	v_cndmask_b32_e32 v11, 0x7c00, v11, vcc_lo
	v_cmp_gt_i32_e32 vcc_lo, 31, v12
	v_cndmask_b32_e32 v9, 0x7c00, v9, vcc_lo
	v_cmp_eq_u32_e32 vcc_lo, 0x40f, v10
	v_cndmask_b32_e32 v5, v11, v5, vcc_lo
	v_cmp_eq_u32_e32 vcc_lo, 0x40f, v12
	v_and_or_b32 v5, 0x8000, v6, v5
	v_cndmask_b32_e32 v7, v9, v7, vcc_lo
	v_and_b32_e32 v5, 0xffff, v5
	v_and_or_b32 v6, 0x8000, v8, v7
	v_lshl_or_b32 v5, v6, 16, v5
	global_store_dword v[0:1], v5, off
	global_load_dword v7, v[36:37], off offset:168
	ds_read2_b32 v[5:6], v72 offset0:42 offset1:67
	s_waitcnt lgkmcnt(0)
	v_lshrrev_b32_e32 v8, 16, v5
	s_waitcnt vmcnt(0)
	v_mul_f16_sdwa v9, v8, v7 dst_sel:DWORD dst_unused:UNUSED_PAD src0_sel:DWORD src1_sel:WORD_1
	v_mul_f16_sdwa v10, v5, v7 dst_sel:DWORD dst_unused:UNUSED_PAD src0_sel:DWORD src1_sel:WORD_1
	v_fmac_f16_e32 v9, v5, v7
	v_fma_f16 v5, v7, v8, -v10
	v_cvt_f32_f16_e32 v7, v9
	v_cvt_f32_f16_e32 v5, v5
	v_cvt_f64_f32_e32 v[7:8], v7
	v_cvt_f64_f32_e32 v[9:10], v5
	v_mul_f64 v[7:8], v[7:8], s[4:5]
	v_mul_f64 v[9:10], v[9:10], s[4:5]
	v_and_or_b32 v5, 0x1ff, v8, v7
	v_and_or_b32 v9, 0x1ff, v10, v9
	v_lshrrev_b32_e32 v7, 8, v8
	v_bfe_u32 v11, v8, 20, 11
	v_lshrrev_b32_e32 v12, 8, v10
	v_cmp_ne_u32_e32 vcc_lo, 0, v5
	v_bfe_u32 v13, v10, 20, 11
	v_lshrrev_b32_e32 v8, 16, v8
	v_sub_nc_u32_e32 v14, 0x3f1, v11
	v_add_nc_u32_e32 v11, 0xfffffc10, v11
	v_cndmask_b32_e64 v5, 0, 1, vcc_lo
	v_cmp_ne_u32_e32 vcc_lo, 0, v9
	v_lshrrev_b32_e32 v10, 16, v10
	v_and_or_b32 v5, 0xffe, v7, v5
	v_cndmask_b32_e64 v9, 0, 1, vcc_lo
	v_sub_nc_u32_e32 v7, 0x3f1, v13
	v_add_nc_u32_e32 v13, 0xfffffc10, v13
	v_and_or_b32 v9, 0xffe, v12, v9
	v_med3_i32 v12, v14, 0, 13
	v_or_b32_e32 v14, 0x1000, v5
	v_med3_i32 v7, v7, 0, 13
	v_or_b32_e32 v15, 0x1000, v9
	v_lshrrev_b32_e32 v16, v12, v14
	v_lshrrev_b32_e32 v17, v7, v15
	v_lshlrev_b32_e32 v12, v12, v16
	v_lshlrev_b32_e32 v7, v7, v17
	v_cmp_ne_u32_e32 vcc_lo, v12, v14
	v_lshl_or_b32 v14, v11, 12, v5
	v_cndmask_b32_e64 v12, 0, 1, vcc_lo
	v_cmp_ne_u32_e32 vcc_lo, v7, v15
	v_lshl_or_b32 v15, v13, 12, v9
	v_or_b32_e32 v12, v16, v12
	v_cndmask_b32_e64 v7, 0, 1, vcc_lo
	v_cmp_gt_i32_e32 vcc_lo, 1, v11
	v_or_b32_e32 v7, v17, v7
	v_cndmask_b32_e32 v12, v14, v12, vcc_lo
	v_cmp_gt_i32_e32 vcc_lo, 1, v13
	v_and_b32_e32 v14, 7, v12
	v_cndmask_b32_e32 v7, v15, v7, vcc_lo
	v_cmp_ne_u32_e32 vcc_lo, 0, v5
	v_lshrrev_b32_e32 v12, 2, v12
	v_cmp_eq_u32_e64 s0, 3, v14
	v_and_b32_e32 v15, 7, v7
	v_cndmask_b32_e64 v5, 0, 1, vcc_lo
	v_cmp_ne_u32_e32 vcc_lo, 0, v9
	v_lshrrev_b32_e32 v7, 2, v7
	v_cmp_lt_i32_e64 s1, 5, v15
	v_cmp_eq_u32_e64 s2, 3, v15
	v_cndmask_b32_e64 v9, 0, 1, vcc_lo
	v_cmp_lt_i32_e32 vcc_lo, 5, v14
	v_lshl_or_b32 v5, v5, 9, 0x7c00
	v_lshl_or_b32 v9, v9, 9, 0x7c00
	s_or_b32 vcc_lo, s0, vcc_lo
	v_add_co_ci_u32_e32 v12, vcc_lo, 0, v12, vcc_lo
	s_or_b32 vcc_lo, s2, s1
	v_add_co_ci_u32_e32 v7, vcc_lo, 0, v7, vcc_lo
	v_cmp_gt_i32_e32 vcc_lo, 31, v11
	v_cndmask_b32_e32 v12, 0x7c00, v12, vcc_lo
	v_cmp_gt_i32_e32 vcc_lo, 31, v13
	v_cndmask_b32_e32 v7, 0x7c00, v7, vcc_lo
	v_cmp_eq_u32_e32 vcc_lo, 0x40f, v11
	v_cndmask_b32_e32 v5, v12, v5, vcc_lo
	v_cmp_eq_u32_e32 vcc_lo, 0x40f, v13
	v_and_or_b32 v5, 0x8000, v8, v5
	v_cndmask_b32_e32 v7, v7, v9, vcc_lo
	v_add_co_u32 v0, vcc_lo, v0, s6
	v_add_co_ci_u32_e32 v1, vcc_lo, s7, v1, vcc_lo
	v_and_or_b32 v7, 0x8000, v10, v7
	v_and_b32_e32 v5, 0xffff, v5
	v_lshl_or_b32 v5, v7, 16, v5
	v_lshrrev_b32_e32 v7, 16, v6
	global_store_dword v[0:1], v5, off
	global_load_dword v5, v[36:37], off offset:268
	s_waitcnt vmcnt(0)
	v_mul_f16_sdwa v8, v7, v5 dst_sel:DWORD dst_unused:UNUSED_PAD src0_sel:DWORD src1_sel:WORD_1
	v_mul_f16_sdwa v9, v6, v5 dst_sel:DWORD dst_unused:UNUSED_PAD src0_sel:DWORD src1_sel:WORD_1
	v_fmac_f16_e32 v8, v6, v5
	v_fma_f16 v5, v5, v7, -v9
	v_cvt_f32_f16_e32 v6, v8
	v_cvt_f32_f16_e32 v7, v5
	v_cvt_f64_f32_e32 v[5:6], v6
	v_cvt_f64_f32_e32 v[7:8], v7
	v_mul_f64 v[5:6], v[5:6], s[4:5]
	v_mul_f64 v[7:8], v[7:8], s[4:5]
	v_and_or_b32 v5, 0x1ff, v6, v5
	v_and_or_b32 v7, 0x1ff, v8, v7
	v_lshrrev_b32_e32 v9, 8, v6
	v_bfe_u32 v10, v6, 20, 11
	v_lshrrev_b32_e32 v11, 8, v8
	v_cmp_ne_u32_e32 vcc_lo, 0, v5
	v_bfe_u32 v12, v8, 20, 11
	v_lshrrev_b32_e32 v6, 16, v6
	v_sub_nc_u32_e32 v13, 0x3f1, v10
	v_add_nc_u32_e32 v10, 0xfffffc10, v10
	v_cndmask_b32_e64 v5, 0, 1, vcc_lo
	v_cmp_ne_u32_e32 vcc_lo, 0, v7
	v_lshrrev_b32_e32 v8, 16, v8
	v_and_or_b32 v5, 0xffe, v9, v5
	v_cndmask_b32_e64 v7, 0, 1, vcc_lo
	v_sub_nc_u32_e32 v9, 0x3f1, v12
	v_add_nc_u32_e32 v12, 0xfffffc10, v12
	v_and_or_b32 v7, 0xffe, v11, v7
	v_med3_i32 v11, v13, 0, 13
	v_or_b32_e32 v13, 0x1000, v5
	v_med3_i32 v9, v9, 0, 13
	v_or_b32_e32 v14, 0x1000, v7
	v_lshrrev_b32_e32 v15, v11, v13
	v_lshrrev_b32_e32 v16, v9, v14
	v_lshlrev_b32_e32 v11, v11, v15
	v_lshlrev_b32_e32 v9, v9, v16
	v_cmp_ne_u32_e32 vcc_lo, v11, v13
	v_lshl_or_b32 v13, v10, 12, v5
	v_cndmask_b32_e64 v11, 0, 1, vcc_lo
	v_cmp_ne_u32_e32 vcc_lo, v9, v14
	v_lshl_or_b32 v14, v12, 12, v7
	v_or_b32_e32 v11, v15, v11
	v_cndmask_b32_e64 v9, 0, 1, vcc_lo
	v_cmp_gt_i32_e32 vcc_lo, 1, v10
	v_or_b32_e32 v9, v16, v9
	v_cndmask_b32_e32 v11, v13, v11, vcc_lo
	v_cmp_gt_i32_e32 vcc_lo, 1, v12
	v_and_b32_e32 v13, 7, v11
	v_cndmask_b32_e32 v9, v14, v9, vcc_lo
	v_cmp_ne_u32_e32 vcc_lo, 0, v5
	v_lshrrev_b32_e32 v11, 2, v11
	v_cmp_eq_u32_e64 s0, 3, v13
	v_and_b32_e32 v14, 7, v9
	v_cndmask_b32_e64 v5, 0, 1, vcc_lo
	v_cmp_ne_u32_e32 vcc_lo, 0, v7
	v_lshrrev_b32_e32 v9, 2, v9
	v_cmp_lt_i32_e64 s1, 5, v14
	v_cmp_eq_u32_e64 s2, 3, v14
	v_cndmask_b32_e64 v7, 0, 1, vcc_lo
	v_cmp_lt_i32_e32 vcc_lo, 5, v13
	v_lshl_or_b32 v5, v5, 9, 0x7c00
	v_lshl_or_b32 v7, v7, 9, 0x7c00
	s_or_b32 vcc_lo, s0, vcc_lo
	v_add_co_ci_u32_e32 v11, vcc_lo, 0, v11, vcc_lo
	s_or_b32 vcc_lo, s2, s1
	v_add_co_ci_u32_e32 v9, vcc_lo, 0, v9, vcc_lo
	v_cmp_gt_i32_e32 vcc_lo, 31, v10
	v_cndmask_b32_e32 v11, 0x7c00, v11, vcc_lo
	v_cmp_gt_i32_e32 vcc_lo, 31, v12
	v_cndmask_b32_e32 v9, 0x7c00, v9, vcc_lo
	v_cmp_eq_u32_e32 vcc_lo, 0x40f, v10
	v_cndmask_b32_e32 v5, v11, v5, vcc_lo
	v_cmp_eq_u32_e32 vcc_lo, 0x40f, v12
	v_and_or_b32 v5, 0x8000, v6, v5
	v_cndmask_b32_e32 v7, v9, v7, vcc_lo
	v_add_co_u32 v0, vcc_lo, v0, s6
	v_add_co_ci_u32_e32 v1, vcc_lo, s7, v1, vcc_lo
	v_and_or_b32 v6, 0x8000, v8, v7
	v_and_b32_e32 v5, 0xffff, v5
	v_lshl_or_b32 v5, v6, 16, v5
	global_store_dword v[0:1], v5, off
	global_load_dword v7, v[36:37], off offset:368
	ds_read2_b32 v[5:6], v72 offset0:92 offset1:117
	s_waitcnt lgkmcnt(0)
	v_lshrrev_b32_e32 v8, 16, v5
	s_waitcnt vmcnt(0)
	v_mul_f16_sdwa v9, v8, v7 dst_sel:DWORD dst_unused:UNUSED_PAD src0_sel:DWORD src1_sel:WORD_1
	v_mul_f16_sdwa v10, v5, v7 dst_sel:DWORD dst_unused:UNUSED_PAD src0_sel:DWORD src1_sel:WORD_1
	v_fmac_f16_e32 v9, v5, v7
	v_fma_f16 v5, v7, v8, -v10
	v_cvt_f32_f16_e32 v7, v9
	v_cvt_f32_f16_e32 v5, v5
	v_cvt_f64_f32_e32 v[7:8], v7
	v_cvt_f64_f32_e32 v[9:10], v5
	v_mul_f64 v[7:8], v[7:8], s[4:5]
	v_mul_f64 v[9:10], v[9:10], s[4:5]
	v_and_or_b32 v5, 0x1ff, v8, v7
	v_and_or_b32 v9, 0x1ff, v10, v9
	v_lshrrev_b32_e32 v7, 8, v8
	v_bfe_u32 v11, v8, 20, 11
	v_lshrrev_b32_e32 v12, 8, v10
	v_cmp_ne_u32_e32 vcc_lo, 0, v5
	v_bfe_u32 v13, v10, 20, 11
	v_lshrrev_b32_e32 v8, 16, v8
	v_sub_nc_u32_e32 v14, 0x3f1, v11
	v_add_nc_u32_e32 v11, 0xfffffc10, v11
	v_cndmask_b32_e64 v5, 0, 1, vcc_lo
	v_cmp_ne_u32_e32 vcc_lo, 0, v9
	v_lshrrev_b32_e32 v10, 16, v10
	v_and_or_b32 v5, 0xffe, v7, v5
	v_cndmask_b32_e64 v9, 0, 1, vcc_lo
	v_sub_nc_u32_e32 v7, 0x3f1, v13
	v_add_nc_u32_e32 v13, 0xfffffc10, v13
	v_and_or_b32 v9, 0xffe, v12, v9
	v_med3_i32 v12, v14, 0, 13
	v_or_b32_e32 v14, 0x1000, v5
	v_med3_i32 v7, v7, 0, 13
	v_or_b32_e32 v15, 0x1000, v9
	v_lshrrev_b32_e32 v16, v12, v14
	v_lshrrev_b32_e32 v17, v7, v15
	v_lshlrev_b32_e32 v12, v12, v16
	v_lshlrev_b32_e32 v7, v7, v17
	v_cmp_ne_u32_e32 vcc_lo, v12, v14
	v_lshl_or_b32 v14, v11, 12, v5
	v_cndmask_b32_e64 v12, 0, 1, vcc_lo
	v_cmp_ne_u32_e32 vcc_lo, v7, v15
	v_lshl_or_b32 v15, v13, 12, v9
	v_or_b32_e32 v12, v16, v12
	v_cndmask_b32_e64 v7, 0, 1, vcc_lo
	v_cmp_gt_i32_e32 vcc_lo, 1, v11
	v_or_b32_e32 v7, v17, v7
	v_cndmask_b32_e32 v12, v14, v12, vcc_lo
	v_cmp_gt_i32_e32 vcc_lo, 1, v13
	v_and_b32_e32 v14, 7, v12
	v_cndmask_b32_e32 v7, v15, v7, vcc_lo
	v_cmp_ne_u32_e32 vcc_lo, 0, v5
	v_lshrrev_b32_e32 v12, 2, v12
	v_cmp_eq_u32_e64 s0, 3, v14
	v_and_b32_e32 v15, 7, v7
	v_cndmask_b32_e64 v5, 0, 1, vcc_lo
	v_cmp_ne_u32_e32 vcc_lo, 0, v9
	v_lshrrev_b32_e32 v7, 2, v7
	v_cmp_lt_i32_e64 s1, 5, v15
	v_cmp_eq_u32_e64 s2, 3, v15
	v_cndmask_b32_e64 v9, 0, 1, vcc_lo
	v_cmp_lt_i32_e32 vcc_lo, 5, v14
	v_lshl_or_b32 v5, v5, 9, 0x7c00
	v_lshl_or_b32 v9, v9, 9, 0x7c00
	s_or_b32 vcc_lo, s0, vcc_lo
	v_add_co_ci_u32_e32 v12, vcc_lo, 0, v12, vcc_lo
	s_or_b32 vcc_lo, s2, s1
	v_add_co_ci_u32_e32 v7, vcc_lo, 0, v7, vcc_lo
	v_cmp_gt_i32_e32 vcc_lo, 31, v11
	v_cndmask_b32_e32 v12, 0x7c00, v12, vcc_lo
	v_cmp_gt_i32_e32 vcc_lo, 31, v13
	v_cndmask_b32_e32 v7, 0x7c00, v7, vcc_lo
	v_cmp_eq_u32_e32 vcc_lo, 0x40f, v11
	v_cndmask_b32_e32 v5, v12, v5, vcc_lo
	v_cmp_eq_u32_e32 vcc_lo, 0x40f, v13
	v_and_or_b32 v5, 0x8000, v8, v5
	v_cndmask_b32_e32 v7, v7, v9, vcc_lo
	v_add_co_u32 v0, vcc_lo, v0, s6
	v_add_co_ci_u32_e32 v1, vcc_lo, s7, v1, vcc_lo
	v_and_or_b32 v7, 0x8000, v10, v7
	v_and_b32_e32 v5, 0xffff, v5
	v_lshl_or_b32 v5, v7, 16, v5
	v_lshrrev_b32_e32 v7, 16, v6
	global_store_dword v[0:1], v5, off
	global_load_dword v5, v[36:37], off offset:468
	s_waitcnt vmcnt(0)
	v_mul_f16_sdwa v8, v7, v5 dst_sel:DWORD dst_unused:UNUSED_PAD src0_sel:DWORD src1_sel:WORD_1
	v_mul_f16_sdwa v9, v6, v5 dst_sel:DWORD dst_unused:UNUSED_PAD src0_sel:DWORD src1_sel:WORD_1
	v_fmac_f16_e32 v8, v6, v5
	v_fma_f16 v5, v5, v7, -v9
	v_cvt_f32_f16_e32 v6, v8
	v_cvt_f32_f16_e32 v7, v5
	v_cvt_f64_f32_e32 v[5:6], v6
	v_cvt_f64_f32_e32 v[7:8], v7
	v_mul_f64 v[5:6], v[5:6], s[4:5]
	v_mul_f64 v[7:8], v[7:8], s[4:5]
	v_and_or_b32 v5, 0x1ff, v6, v5
	v_and_or_b32 v7, 0x1ff, v8, v7
	v_lshrrev_b32_e32 v9, 8, v6
	v_bfe_u32 v10, v6, 20, 11
	v_lshrrev_b32_e32 v11, 8, v8
	v_cmp_ne_u32_e32 vcc_lo, 0, v5
	v_bfe_u32 v12, v8, 20, 11
	v_lshrrev_b32_e32 v6, 16, v6
	v_sub_nc_u32_e32 v13, 0x3f1, v10
	v_add_nc_u32_e32 v10, 0xfffffc10, v10
	v_cndmask_b32_e64 v5, 0, 1, vcc_lo
	v_cmp_ne_u32_e32 vcc_lo, 0, v7
	v_lshrrev_b32_e32 v8, 16, v8
	v_and_or_b32 v5, 0xffe, v9, v5
	v_cndmask_b32_e64 v7, 0, 1, vcc_lo
	v_sub_nc_u32_e32 v9, 0x3f1, v12
	v_add_nc_u32_e32 v12, 0xfffffc10, v12
	v_and_or_b32 v7, 0xffe, v11, v7
	v_med3_i32 v11, v13, 0, 13
	v_or_b32_e32 v13, 0x1000, v5
	v_med3_i32 v9, v9, 0, 13
	v_or_b32_e32 v14, 0x1000, v7
	v_lshrrev_b32_e32 v15, v11, v13
	v_lshrrev_b32_e32 v16, v9, v14
	v_lshlrev_b32_e32 v11, v11, v15
	v_lshlrev_b32_e32 v9, v9, v16
	v_cmp_ne_u32_e32 vcc_lo, v11, v13
	v_lshl_or_b32 v13, v10, 12, v5
	v_cndmask_b32_e64 v11, 0, 1, vcc_lo
	v_cmp_ne_u32_e32 vcc_lo, v9, v14
	v_lshl_or_b32 v14, v12, 12, v7
	v_or_b32_e32 v11, v15, v11
	v_cndmask_b32_e64 v9, 0, 1, vcc_lo
	v_cmp_gt_i32_e32 vcc_lo, 1, v10
	v_or_b32_e32 v9, v16, v9
	v_cndmask_b32_e32 v11, v13, v11, vcc_lo
	v_cmp_gt_i32_e32 vcc_lo, 1, v12
	v_and_b32_e32 v13, 7, v11
	v_cndmask_b32_e32 v9, v14, v9, vcc_lo
	v_cmp_ne_u32_e32 vcc_lo, 0, v5
	v_lshrrev_b32_e32 v11, 2, v11
	v_cmp_eq_u32_e64 s0, 3, v13
	v_and_b32_e32 v14, 7, v9
	v_cndmask_b32_e64 v5, 0, 1, vcc_lo
	v_cmp_ne_u32_e32 vcc_lo, 0, v7
	v_lshrrev_b32_e32 v9, 2, v9
	v_cmp_lt_i32_e64 s1, 5, v14
	v_cmp_eq_u32_e64 s2, 3, v14
	v_cndmask_b32_e64 v7, 0, 1, vcc_lo
	v_cmp_lt_i32_e32 vcc_lo, 5, v13
	v_lshl_or_b32 v5, v5, 9, 0x7c00
	v_lshl_or_b32 v7, v7, 9, 0x7c00
	s_or_b32 vcc_lo, s0, vcc_lo
	v_add_co_ci_u32_e32 v11, vcc_lo, 0, v11, vcc_lo
	s_or_b32 vcc_lo, s2, s1
	v_add_co_ci_u32_e32 v9, vcc_lo, 0, v9, vcc_lo
	v_cmp_gt_i32_e32 vcc_lo, 31, v10
	v_cndmask_b32_e32 v11, 0x7c00, v11, vcc_lo
	v_cmp_gt_i32_e32 vcc_lo, 31, v12
	v_cndmask_b32_e32 v9, 0x7c00, v9, vcc_lo
	v_cmp_eq_u32_e32 vcc_lo, 0x40f, v10
	v_cndmask_b32_e32 v5, v11, v5, vcc_lo
	v_cmp_eq_u32_e32 vcc_lo, 0x40f, v12
	v_and_or_b32 v5, 0x8000, v6, v5
	v_cndmask_b32_e32 v7, v9, v7, vcc_lo
	v_add_co_u32 v0, vcc_lo, v0, s6
	v_add_co_ci_u32_e32 v1, vcc_lo, s7, v1, vcc_lo
	v_and_or_b32 v6, 0x8000, v8, v7
	v_and_b32_e32 v5, 0xffff, v5
	v_lshl_or_b32 v5, v6, 16, v5
	global_store_dword v[0:1], v5, off
	global_load_dword v7, v[36:37], off offset:568
	ds_read2_b32 v[5:6], v72 offset0:142 offset1:167
	s_waitcnt lgkmcnt(0)
	v_lshrrev_b32_e32 v8, 16, v5
	s_waitcnt vmcnt(0)
	v_mul_f16_sdwa v9, v8, v7 dst_sel:DWORD dst_unused:UNUSED_PAD src0_sel:DWORD src1_sel:WORD_1
	v_mul_f16_sdwa v10, v5, v7 dst_sel:DWORD dst_unused:UNUSED_PAD src0_sel:DWORD src1_sel:WORD_1
	v_fmac_f16_e32 v9, v5, v7
	v_fma_f16 v5, v7, v8, -v10
	v_cvt_f32_f16_e32 v7, v9
	v_cvt_f32_f16_e32 v5, v5
	v_cvt_f64_f32_e32 v[7:8], v7
	v_cvt_f64_f32_e32 v[9:10], v5
	v_mul_f64 v[7:8], v[7:8], s[4:5]
	v_mul_f64 v[9:10], v[9:10], s[4:5]
	v_and_or_b32 v5, 0x1ff, v8, v7
	v_and_or_b32 v9, 0x1ff, v10, v9
	v_lshrrev_b32_e32 v7, 8, v8
	v_bfe_u32 v11, v8, 20, 11
	v_lshrrev_b32_e32 v12, 8, v10
	v_cmp_ne_u32_e32 vcc_lo, 0, v5
	v_bfe_u32 v13, v10, 20, 11
	v_lshrrev_b32_e32 v8, 16, v8
	v_sub_nc_u32_e32 v14, 0x3f1, v11
	v_add_nc_u32_e32 v11, 0xfffffc10, v11
	v_cndmask_b32_e64 v5, 0, 1, vcc_lo
	v_cmp_ne_u32_e32 vcc_lo, 0, v9
	v_lshrrev_b32_e32 v10, 16, v10
	v_and_or_b32 v5, 0xffe, v7, v5
	v_cndmask_b32_e64 v9, 0, 1, vcc_lo
	v_sub_nc_u32_e32 v7, 0x3f1, v13
	v_add_nc_u32_e32 v13, 0xfffffc10, v13
	v_and_or_b32 v9, 0xffe, v12, v9
	v_med3_i32 v12, v14, 0, 13
	v_or_b32_e32 v14, 0x1000, v5
	v_med3_i32 v7, v7, 0, 13
	v_or_b32_e32 v15, 0x1000, v9
	v_lshrrev_b32_e32 v16, v12, v14
	v_lshrrev_b32_e32 v17, v7, v15
	v_lshlrev_b32_e32 v12, v12, v16
	v_lshlrev_b32_e32 v7, v7, v17
	v_cmp_ne_u32_e32 vcc_lo, v12, v14
	v_lshl_or_b32 v14, v11, 12, v5
	v_cndmask_b32_e64 v12, 0, 1, vcc_lo
	v_cmp_ne_u32_e32 vcc_lo, v7, v15
	v_lshl_or_b32 v15, v13, 12, v9
	v_or_b32_e32 v12, v16, v12
	v_cndmask_b32_e64 v7, 0, 1, vcc_lo
	v_cmp_gt_i32_e32 vcc_lo, 1, v11
	v_or_b32_e32 v7, v17, v7
	v_cndmask_b32_e32 v12, v14, v12, vcc_lo
	v_cmp_gt_i32_e32 vcc_lo, 1, v13
	v_and_b32_e32 v14, 7, v12
	v_cndmask_b32_e32 v7, v15, v7, vcc_lo
	v_cmp_ne_u32_e32 vcc_lo, 0, v5
	v_lshrrev_b32_e32 v12, 2, v12
	v_cmp_eq_u32_e64 s0, 3, v14
	v_and_b32_e32 v15, 7, v7
	v_cndmask_b32_e64 v5, 0, 1, vcc_lo
	v_cmp_ne_u32_e32 vcc_lo, 0, v9
	v_lshrrev_b32_e32 v7, 2, v7
	v_cmp_lt_i32_e64 s1, 5, v15
	v_cmp_eq_u32_e64 s2, 3, v15
	v_cndmask_b32_e64 v9, 0, 1, vcc_lo
	v_cmp_lt_i32_e32 vcc_lo, 5, v14
	v_lshl_or_b32 v5, v5, 9, 0x7c00
	v_lshl_or_b32 v9, v9, 9, 0x7c00
	s_or_b32 vcc_lo, s0, vcc_lo
	v_add_co_ci_u32_e32 v12, vcc_lo, 0, v12, vcc_lo
	s_or_b32 vcc_lo, s2, s1
	v_add_co_ci_u32_e32 v7, vcc_lo, 0, v7, vcc_lo
	v_cmp_gt_i32_e32 vcc_lo, 31, v11
	v_cndmask_b32_e32 v12, 0x7c00, v12, vcc_lo
	v_cmp_gt_i32_e32 vcc_lo, 31, v13
	v_cndmask_b32_e32 v7, 0x7c00, v7, vcc_lo
	v_cmp_eq_u32_e32 vcc_lo, 0x40f, v11
	v_cndmask_b32_e32 v5, v12, v5, vcc_lo
	v_cmp_eq_u32_e32 vcc_lo, 0x40f, v13
	v_and_or_b32 v5, 0x8000, v8, v5
	v_cndmask_b32_e32 v7, v7, v9, vcc_lo
	v_add_co_u32 v0, vcc_lo, v0, s6
	v_add_co_ci_u32_e32 v1, vcc_lo, s7, v1, vcc_lo
	v_and_or_b32 v7, 0x8000, v10, v7
	v_and_b32_e32 v5, 0xffff, v5
	v_lshl_or_b32 v5, v7, 16, v5
	v_lshrrev_b32_e32 v7, 16, v6
	global_store_dword v[0:1], v5, off
	global_load_dword v5, v[36:37], off offset:668
	s_waitcnt vmcnt(0)
	v_mul_f16_sdwa v8, v7, v5 dst_sel:DWORD dst_unused:UNUSED_PAD src0_sel:DWORD src1_sel:WORD_1
	v_mul_f16_sdwa v9, v6, v5 dst_sel:DWORD dst_unused:UNUSED_PAD src0_sel:DWORD src1_sel:WORD_1
	v_fmac_f16_e32 v8, v6, v5
	v_fma_f16 v5, v5, v7, -v9
	v_cvt_f32_f16_e32 v6, v8
	v_cvt_f32_f16_e32 v7, v5
	v_cvt_f64_f32_e32 v[5:6], v6
	v_cvt_f64_f32_e32 v[7:8], v7
	v_mul_f64 v[5:6], v[5:6], s[4:5]
	v_mul_f64 v[7:8], v[7:8], s[4:5]
	v_and_or_b32 v5, 0x1ff, v6, v5
	v_and_or_b32 v7, 0x1ff, v8, v7
	v_lshrrev_b32_e32 v9, 8, v6
	v_bfe_u32 v10, v6, 20, 11
	v_lshrrev_b32_e32 v11, 8, v8
	v_cmp_ne_u32_e32 vcc_lo, 0, v5
	v_bfe_u32 v12, v8, 20, 11
	v_lshrrev_b32_e32 v6, 16, v6
	v_sub_nc_u32_e32 v13, 0x3f1, v10
	v_add_nc_u32_e32 v10, 0xfffffc10, v10
	v_cndmask_b32_e64 v5, 0, 1, vcc_lo
	v_cmp_ne_u32_e32 vcc_lo, 0, v7
	v_lshrrev_b32_e32 v8, 16, v8
	v_and_or_b32 v5, 0xffe, v9, v5
	v_cndmask_b32_e64 v7, 0, 1, vcc_lo
	v_sub_nc_u32_e32 v9, 0x3f1, v12
	v_add_nc_u32_e32 v12, 0xfffffc10, v12
	v_and_or_b32 v7, 0xffe, v11, v7
	v_med3_i32 v11, v13, 0, 13
	v_or_b32_e32 v13, 0x1000, v5
	v_med3_i32 v9, v9, 0, 13
	v_or_b32_e32 v14, 0x1000, v7
	v_lshrrev_b32_e32 v15, v11, v13
	v_lshrrev_b32_e32 v16, v9, v14
	v_lshlrev_b32_e32 v11, v11, v15
	v_lshlrev_b32_e32 v9, v9, v16
	v_cmp_ne_u32_e32 vcc_lo, v11, v13
	v_lshl_or_b32 v13, v10, 12, v5
	v_cndmask_b32_e64 v11, 0, 1, vcc_lo
	v_cmp_ne_u32_e32 vcc_lo, v9, v14
	v_lshl_or_b32 v14, v12, 12, v7
	v_or_b32_e32 v11, v15, v11
	v_cndmask_b32_e64 v9, 0, 1, vcc_lo
	v_cmp_gt_i32_e32 vcc_lo, 1, v10
	v_or_b32_e32 v9, v16, v9
	v_cndmask_b32_e32 v11, v13, v11, vcc_lo
	v_cmp_gt_i32_e32 vcc_lo, 1, v12
	v_and_b32_e32 v13, 7, v11
	v_cndmask_b32_e32 v9, v14, v9, vcc_lo
	v_cmp_ne_u32_e32 vcc_lo, 0, v5
	v_lshrrev_b32_e32 v11, 2, v11
	v_cmp_eq_u32_e64 s0, 3, v13
	v_and_b32_e32 v14, 7, v9
	v_cndmask_b32_e64 v5, 0, 1, vcc_lo
	v_cmp_ne_u32_e32 vcc_lo, 0, v7
	v_lshrrev_b32_e32 v9, 2, v9
	v_cmp_lt_i32_e64 s1, 5, v14
	v_cmp_eq_u32_e64 s2, 3, v14
	v_cndmask_b32_e64 v7, 0, 1, vcc_lo
	v_cmp_lt_i32_e32 vcc_lo, 5, v13
	v_lshl_or_b32 v5, v5, 9, 0x7c00
	v_lshl_or_b32 v7, v7, 9, 0x7c00
	s_or_b32 vcc_lo, s0, vcc_lo
	v_add_co_ci_u32_e32 v11, vcc_lo, 0, v11, vcc_lo
	s_or_b32 vcc_lo, s2, s1
	v_add_co_ci_u32_e32 v9, vcc_lo, 0, v9, vcc_lo
	v_cmp_gt_i32_e32 vcc_lo, 31, v10
	v_cndmask_b32_e32 v11, 0x7c00, v11, vcc_lo
	v_cmp_gt_i32_e32 vcc_lo, 31, v12
	v_cndmask_b32_e32 v9, 0x7c00, v9, vcc_lo
	v_cmp_eq_u32_e32 vcc_lo, 0x40f, v10
	v_cndmask_b32_e32 v5, v11, v5, vcc_lo
	v_cmp_eq_u32_e32 vcc_lo, 0x40f, v12
	v_and_or_b32 v5, 0x8000, v6, v5
	v_cndmask_b32_e32 v7, v9, v7, vcc_lo
	v_add_co_u32 v0, vcc_lo, v0, s6
	v_add_co_ci_u32_e32 v1, vcc_lo, s7, v1, vcc_lo
	v_and_or_b32 v6, 0x8000, v8, v7
	v_and_b32_e32 v5, 0xffff, v5
	v_lshl_or_b32 v5, v6, 16, v5
	global_store_dword v[0:1], v5, off
	global_load_dword v7, v[36:37], off offset:768
	ds_read2_b32 v[5:6], v72 offset0:192 offset1:217
	v_mad_u64_u32 v[0:1], null, 0xc8, s8, v[0:1]
	v_add_nc_u32_e32 v1, s3, v1
	s_waitcnt lgkmcnt(0)
	v_lshrrev_b32_e32 v8, 16, v5
	s_waitcnt vmcnt(0)
	v_mul_f16_sdwa v9, v8, v7 dst_sel:DWORD dst_unused:UNUSED_PAD src0_sel:DWORD src1_sel:WORD_1
	v_mul_f16_sdwa v10, v5, v7 dst_sel:DWORD dst_unused:UNUSED_PAD src0_sel:DWORD src1_sel:WORD_1
	v_fmac_f16_e32 v9, v5, v7
	v_fma_f16 v5, v7, v8, -v10
	v_cvt_f32_f16_e32 v7, v9
	v_cvt_f32_f16_e32 v5, v5
	v_cvt_f64_f32_e32 v[7:8], v7
	v_cvt_f64_f32_e32 v[9:10], v5
	v_mul_f64 v[7:8], v[7:8], s[4:5]
	v_mul_f64 v[9:10], v[9:10], s[4:5]
	v_and_or_b32 v5, 0x1ff, v8, v7
	v_lshrrev_b32_e32 v7, 8, v8
	v_bfe_u32 v13, v8, 20, 11
	v_and_or_b32 v9, 0x1ff, v10, v9
	v_lshrrev_b32_e32 v11, 8, v10
	v_cmp_ne_u32_e32 vcc_lo, 0, v5
	v_bfe_u32 v14, v10, 20, 11
	v_sub_nc_u32_e32 v12, 0x3f1, v13
	v_lshrrev_b32_e32 v8, 16, v8
	v_lshrrev_b32_e32 v10, 16, v10
	v_cndmask_b32_e64 v5, 0, 1, vcc_lo
	v_cmp_ne_u32_e32 vcc_lo, 0, v9
	v_sub_nc_u32_e32 v15, 0x3f1, v14
	v_add_nc_u32_e32 v14, 0xfffffc10, v14
	v_and_or_b32 v7, 0xffe, v7, v5
	v_med3_i32 v5, v12, 0, 13
	v_cndmask_b32_e64 v9, 0, 1, vcc_lo
	v_med3_i32 v15, v15, 0, 13
	v_or_b32_e32 v16, 0x1000, v7
	v_and_or_b32 v9, 0xffe, v11, v9
	v_lshrrev_b32_e32 v18, v5, v16
	v_or_b32_e32 v17, 0x1000, v9
	v_lshlrev_b32_e32 v20, v5, v18
	v_lshrrev_b32_e32 v19, v15, v17
	v_cmp_ne_u32_e32 vcc_lo, v20, v16
	buffer_load_dword v20, off, s[20:23], 0 ; 4-byte Folded Reload
	v_mad_u64_u32 v[11:12], null, s8, v21, 0
	v_cndmask_b32_e64 v16, 0, 1, vcc_lo
	v_mov_b32_e32 v5, v12
	v_lshlrev_b32_e32 v12, v15, v19
	v_add_nc_u32_e32 v15, 0xfffffc10, v13
	v_cmp_ne_u32_e32 vcc_lo, v12, v17
	v_mad_u64_u32 v[12:13], null, s9, v21, v[5:6]
	v_lshl_or_b32 v5, v15, 12, v7
	v_or_b32_e32 v13, v18, v16
	v_cndmask_b32_e64 v17, 0, 1, vcc_lo
	v_cmp_gt_i32_e32 vcc_lo, 1, v15
	v_lshl_or_b32 v16, v14, 12, v9
	v_or_b32_e32 v17, v19, v17
	v_cndmask_b32_e32 v5, v5, v13, vcc_lo
	v_cmp_gt_i32_e32 vcc_lo, 1, v14
	v_cndmask_b32_e32 v13, v16, v17, vcc_lo
	v_cmp_ne_u32_e32 vcc_lo, 0, v7
	v_and_b32_e32 v16, 7, v5
	v_lshrrev_b32_e32 v5, 2, v5
	v_and_b32_e32 v17, 7, v13
	v_cndmask_b32_e64 v7, 0, 1, vcc_lo
	v_cmp_ne_u32_e32 vcc_lo, 0, v9
	v_cmp_eq_u32_e64 s0, 3, v16
	v_lshrrev_b32_e32 v13, 2, v13
	v_cmp_lt_i32_e64 s1, 5, v17
	v_cmp_eq_u32_e64 s2, 3, v17
	v_cndmask_b32_e64 v9, 0, 1, vcc_lo
	v_cmp_lt_i32_e32 vcc_lo, 5, v16
	v_lshl_or_b32 v7, v7, 9, 0x7c00
	v_lshl_or_b32 v9, v9, 9, 0x7c00
	s_or_b32 vcc_lo, s0, vcc_lo
	v_add_co_ci_u32_e32 v5, vcc_lo, 0, v5, vcc_lo
	s_or_b32 vcc_lo, s2, s1
	v_add_co_ci_u32_e32 v13, vcc_lo, 0, v13, vcc_lo
	v_cmp_gt_i32_e32 vcc_lo, 31, v15
	v_cndmask_b32_e32 v5, 0x7c00, v5, vcc_lo
	v_cmp_gt_i32_e32 vcc_lo, 31, v14
	v_cndmask_b32_e32 v13, 0x7c00, v13, vcc_lo
	v_cmp_eq_u32_e32 vcc_lo, 0x40f, v15
	v_cndmask_b32_e32 v5, v5, v7, vcc_lo
	v_cmp_eq_u32_e32 vcc_lo, 0x40f, v14
	v_and_or_b32 v5, 0x8000, v8, v5
	v_cndmask_b32_e32 v9, v13, v9, vcc_lo
	v_lshlrev_b64 v[7:8], 2, v[11:12]
	v_and_b32_e32 v5, 0xffff, v5
	v_and_or_b32 v9, 0x8000, v10, v9
	v_add_co_u32 v7, vcc_lo, v2, v7
	v_add_co_ci_u32_e32 v8, vcc_lo, v3, v8, vcc_lo
	v_lshl_or_b32 v5, v9, 16, v5
	global_store_dword v[7:8], v5, off
	global_load_dword v5, v[36:37], off offset:868
	v_lshrrev_b32_e32 v7, 16, v6
	s_waitcnt vmcnt(0)
	v_mul_f16_sdwa v8, v7, v5 dst_sel:DWORD dst_unused:UNUSED_PAD src0_sel:DWORD src1_sel:WORD_1
	v_mul_f16_sdwa v9, v6, v5 dst_sel:DWORD dst_unused:UNUSED_PAD src0_sel:DWORD src1_sel:WORD_1
	v_fmac_f16_e32 v8, v6, v5
	v_fma_f16 v5, v5, v7, -v9
	v_cvt_f32_f16_e32 v6, v8
	v_cvt_f32_f16_e32 v7, v5
	v_cvt_f64_f32_e32 v[5:6], v6
	v_cvt_f64_f32_e32 v[7:8], v7
	v_mul_f64 v[5:6], v[5:6], s[4:5]
	v_mul_f64 v[7:8], v[7:8], s[4:5]
	v_and_or_b32 v5, 0x1ff, v6, v5
	v_and_or_b32 v7, 0x1ff, v8, v7
	v_lshrrev_b32_e32 v9, 8, v6
	v_bfe_u32 v10, v6, 20, 11
	v_lshrrev_b32_e32 v11, 8, v8
	v_cmp_ne_u32_e32 vcc_lo, 0, v5
	v_bfe_u32 v12, v8, 20, 11
	v_lshrrev_b32_e32 v6, 16, v6
	v_sub_nc_u32_e32 v13, 0x3f1, v10
	v_add_nc_u32_e32 v10, 0xfffffc10, v10
	v_cndmask_b32_e64 v5, 0, 1, vcc_lo
	v_cmp_ne_u32_e32 vcc_lo, 0, v7
	v_lshrrev_b32_e32 v8, 16, v8
	v_and_or_b32 v5, 0xffe, v9, v5
	v_cndmask_b32_e64 v7, 0, 1, vcc_lo
	v_sub_nc_u32_e32 v9, 0x3f1, v12
	v_add_nc_u32_e32 v12, 0xfffffc10, v12
	v_and_or_b32 v7, 0xffe, v11, v7
	v_med3_i32 v11, v13, 0, 13
	v_or_b32_e32 v13, 0x1000, v5
	v_med3_i32 v9, v9, 0, 13
	v_or_b32_e32 v14, 0x1000, v7
	v_lshrrev_b32_e32 v15, v11, v13
	v_lshrrev_b32_e32 v16, v9, v14
	v_lshlrev_b32_e32 v11, v11, v15
	v_lshlrev_b32_e32 v9, v9, v16
	v_cmp_ne_u32_e32 vcc_lo, v11, v13
	v_lshl_or_b32 v13, v10, 12, v5
	v_cndmask_b32_e64 v11, 0, 1, vcc_lo
	v_cmp_ne_u32_e32 vcc_lo, v9, v14
	v_lshl_or_b32 v14, v12, 12, v7
	v_or_b32_e32 v11, v15, v11
	v_cndmask_b32_e64 v9, 0, 1, vcc_lo
	v_cmp_gt_i32_e32 vcc_lo, 1, v10
	v_or_b32_e32 v9, v16, v9
	v_cndmask_b32_e32 v11, v13, v11, vcc_lo
	v_cmp_gt_i32_e32 vcc_lo, 1, v12
	v_and_b32_e32 v13, 7, v11
	v_cndmask_b32_e32 v9, v14, v9, vcc_lo
	v_cmp_ne_u32_e32 vcc_lo, 0, v5
	v_lshrrev_b32_e32 v11, 2, v11
	v_cmp_eq_u32_e64 s0, 3, v13
	v_and_b32_e32 v14, 7, v9
	v_cndmask_b32_e64 v5, 0, 1, vcc_lo
	v_cmp_ne_u32_e32 vcc_lo, 0, v7
	v_lshrrev_b32_e32 v9, 2, v9
	v_cmp_lt_i32_e64 s1, 5, v14
	v_cmp_eq_u32_e64 s2, 3, v14
	v_cndmask_b32_e64 v7, 0, 1, vcc_lo
	v_cmp_lt_i32_e32 vcc_lo, 5, v13
	v_lshl_or_b32 v5, v5, 9, 0x7c00
	v_lshl_or_b32 v7, v7, 9, 0x7c00
	s_or_b32 vcc_lo, s0, vcc_lo
	v_add_co_ci_u32_e32 v11, vcc_lo, 0, v11, vcc_lo
	s_or_b32 vcc_lo, s2, s1
	v_add_co_ci_u32_e32 v9, vcc_lo, 0, v9, vcc_lo
	v_cmp_gt_i32_e32 vcc_lo, 31, v10
	v_cndmask_b32_e32 v11, 0x7c00, v11, vcc_lo
	v_cmp_gt_i32_e32 vcc_lo, 31, v12
	v_cndmask_b32_e32 v9, 0x7c00, v9, vcc_lo
	v_cmp_eq_u32_e32 vcc_lo, 0x40f, v10
	v_cndmask_b32_e32 v5, v11, v5, vcc_lo
	v_cmp_eq_u32_e32 vcc_lo, 0x40f, v12
	v_and_or_b32 v5, 0x8000, v6, v5
	v_cndmask_b32_e32 v7, v9, v7, vcc_lo
	v_and_b32_e32 v5, 0xffff, v5
	v_and_or_b32 v6, 0x8000, v8, v7
	v_lshl_or_b32 v5, v6, 16, v5
	global_store_dword v[0:1], v5, off
	global_load_dword v6, v[36:37], off offset:968
	ds_read2_b32 v[4:5], v4 offset0:114 offset1:139
	s_waitcnt lgkmcnt(0)
	v_lshrrev_b32_e32 v7, 16, v4
	s_waitcnt vmcnt(0)
	v_mul_f16_sdwa v8, v7, v6 dst_sel:DWORD dst_unused:UNUSED_PAD src0_sel:DWORD src1_sel:WORD_1
	v_mul_f16_sdwa v9, v4, v6 dst_sel:DWORD dst_unused:UNUSED_PAD src0_sel:DWORD src1_sel:WORD_1
	v_fmac_f16_e32 v8, v4, v6
	v_fma_f16 v4, v6, v7, -v9
	v_cvt_f32_f16_e32 v6, v8
	v_cvt_f32_f16_e32 v4, v4
	v_cvt_f64_f32_e32 v[6:7], v6
	v_cvt_f64_f32_e32 v[8:9], v4
	v_mul_f64 v[6:7], v[6:7], s[4:5]
	v_mul_f64 v[8:9], v[8:9], s[4:5]
	v_and_or_b32 v4, 0x1ff, v7, v6
	v_and_or_b32 v8, 0x1ff, v9, v8
	v_lshrrev_b32_e32 v6, 8, v7
	v_bfe_u32 v10, v7, 20, 11
	v_lshrrev_b32_e32 v11, 8, v9
	v_cmp_ne_u32_e32 vcc_lo, 0, v4
	v_bfe_u32 v12, v9, 20, 11
	v_lshrrev_b32_e32 v7, 16, v7
	v_sub_nc_u32_e32 v13, 0x3f1, v10
	v_add_nc_u32_e32 v10, 0xfffffc10, v10
	v_cndmask_b32_e64 v4, 0, 1, vcc_lo
	v_cmp_ne_u32_e32 vcc_lo, 0, v8
	v_lshrrev_b32_e32 v9, 16, v9
	v_and_or_b32 v4, 0xffe, v6, v4
	v_cndmask_b32_e64 v8, 0, 1, vcc_lo
	v_sub_nc_u32_e32 v6, 0x3f1, v12
	v_add_nc_u32_e32 v12, 0xfffffc10, v12
	v_and_or_b32 v8, 0xffe, v11, v8
	v_med3_i32 v11, v13, 0, 13
	v_or_b32_e32 v13, 0x1000, v4
	v_med3_i32 v6, v6, 0, 13
	v_or_b32_e32 v14, 0x1000, v8
	v_lshrrev_b32_e32 v15, v11, v13
	v_lshrrev_b32_e32 v16, v6, v14
	v_lshlrev_b32_e32 v11, v11, v15
	v_lshlrev_b32_e32 v6, v6, v16
	v_cmp_ne_u32_e32 vcc_lo, v11, v13
	v_lshl_or_b32 v13, v10, 12, v4
	v_cndmask_b32_e64 v11, 0, 1, vcc_lo
	v_cmp_ne_u32_e32 vcc_lo, v6, v14
	v_lshl_or_b32 v14, v12, 12, v8
	v_or_b32_e32 v11, v15, v11
	v_cndmask_b32_e64 v6, 0, 1, vcc_lo
	v_cmp_gt_i32_e32 vcc_lo, 1, v10
	v_or_b32_e32 v6, v16, v6
	v_cndmask_b32_e32 v11, v13, v11, vcc_lo
	v_cmp_gt_i32_e32 vcc_lo, 1, v12
	v_and_b32_e32 v13, 7, v11
	v_cndmask_b32_e32 v6, v14, v6, vcc_lo
	v_cmp_ne_u32_e32 vcc_lo, 0, v4
	v_lshrrev_b32_e32 v11, 2, v11
	v_cmp_eq_u32_e64 s0, 3, v13
	v_and_b32_e32 v14, 7, v6
	v_cndmask_b32_e64 v4, 0, 1, vcc_lo
	v_cmp_ne_u32_e32 vcc_lo, 0, v8
	v_lshrrev_b32_e32 v6, 2, v6
	v_cmp_lt_i32_e64 s1, 5, v14
	v_cmp_eq_u32_e64 s2, 3, v14
	v_cndmask_b32_e64 v8, 0, 1, vcc_lo
	v_cmp_lt_i32_e32 vcc_lo, 5, v13
	v_lshl_or_b32 v4, v4, 9, 0x7c00
	v_lshl_or_b32 v8, v8, 9, 0x7c00
	s_or_b32 vcc_lo, s0, vcc_lo
	v_add_co_ci_u32_e32 v11, vcc_lo, 0, v11, vcc_lo
	s_or_b32 vcc_lo, s2, s1
	v_add_co_ci_u32_e32 v6, vcc_lo, 0, v6, vcc_lo
	v_cmp_gt_i32_e32 vcc_lo, 31, v10
	v_cndmask_b32_e32 v11, 0x7c00, v11, vcc_lo
	v_cmp_gt_i32_e32 vcc_lo, 31, v12
	v_cndmask_b32_e32 v6, 0x7c00, v6, vcc_lo
	v_cmp_eq_u32_e32 vcc_lo, 0x40f, v10
	v_cndmask_b32_e32 v4, v11, v4, vcc_lo
	v_cmp_eq_u32_e32 vcc_lo, 0x40f, v12
	v_and_or_b32 v4, 0x8000, v7, v4
	v_cndmask_b32_e32 v6, v6, v8, vcc_lo
	v_add_co_u32 v0, vcc_lo, v0, s6
	v_add_co_ci_u32_e32 v1, vcc_lo, s7, v1, vcc_lo
	v_and_or_b32 v6, 0x8000, v9, v6
	v_and_b32_e32 v4, 0xffff, v4
	v_lshl_or_b32 v4, v6, 16, v4
	v_lshrrev_b32_e32 v6, 16, v5
	global_store_dword v[0:1], v4, off
	global_load_dword v4, v[36:37], off offset:1068
	s_waitcnt vmcnt(0)
	v_mul_f16_sdwa v7, v6, v4 dst_sel:DWORD dst_unused:UNUSED_PAD src0_sel:DWORD src1_sel:WORD_1
	v_mul_f16_sdwa v8, v5, v4 dst_sel:DWORD dst_unused:UNUSED_PAD src0_sel:DWORD src1_sel:WORD_1
	v_fmac_f16_e32 v7, v5, v4
	v_fma_f16 v4, v4, v6, -v8
	v_cvt_f32_f16_e32 v5, v7
	v_cvt_f32_f16_e32 v6, v4
	v_cvt_f64_f32_e32 v[4:5], v5
	v_cvt_f64_f32_e32 v[6:7], v6
	v_mul_f64 v[4:5], v[4:5], s[4:5]
	v_mul_f64 v[6:7], v[6:7], s[4:5]
	v_and_or_b32 v4, 0x1ff, v5, v4
	v_and_or_b32 v6, 0x1ff, v7, v6
	v_lshrrev_b32_e32 v8, 8, v5
	v_bfe_u32 v9, v5, 20, 11
	v_lshrrev_b32_e32 v10, 8, v7
	v_cmp_ne_u32_e32 vcc_lo, 0, v4
	v_bfe_u32 v11, v7, 20, 11
	v_lshrrev_b32_e32 v5, 16, v5
	v_sub_nc_u32_e32 v12, 0x3f1, v9
	v_add_nc_u32_e32 v9, 0xfffffc10, v9
	v_cndmask_b32_e64 v4, 0, 1, vcc_lo
	v_cmp_ne_u32_e32 vcc_lo, 0, v6
	v_lshrrev_b32_e32 v7, 16, v7
	v_and_or_b32 v4, 0xffe, v8, v4
	v_cndmask_b32_e64 v6, 0, 1, vcc_lo
	v_sub_nc_u32_e32 v8, 0x3f1, v11
	v_add_nc_u32_e32 v11, 0xfffffc10, v11
	v_and_or_b32 v6, 0xffe, v10, v6
	v_med3_i32 v10, v12, 0, 13
	v_or_b32_e32 v12, 0x1000, v4
	v_med3_i32 v8, v8, 0, 13
	v_or_b32_e32 v13, 0x1000, v6
	v_lshrrev_b32_e32 v14, v10, v12
	v_lshrrev_b32_e32 v15, v8, v13
	v_lshlrev_b32_e32 v10, v10, v14
	v_lshlrev_b32_e32 v8, v8, v15
	v_cmp_ne_u32_e32 vcc_lo, v10, v12
	v_lshl_or_b32 v12, v9, 12, v4
	v_cndmask_b32_e64 v10, 0, 1, vcc_lo
	v_cmp_ne_u32_e32 vcc_lo, v8, v13
	v_lshl_or_b32 v13, v11, 12, v6
	v_or_b32_e32 v10, v14, v10
	v_cndmask_b32_e64 v8, 0, 1, vcc_lo
	v_cmp_gt_i32_e32 vcc_lo, 1, v9
	v_or_b32_e32 v8, v15, v8
	v_cndmask_b32_e32 v10, v12, v10, vcc_lo
	v_cmp_gt_i32_e32 vcc_lo, 1, v11
	v_and_b32_e32 v12, 7, v10
	v_cndmask_b32_e32 v8, v13, v8, vcc_lo
	v_cmp_ne_u32_e32 vcc_lo, 0, v4
	v_lshrrev_b32_e32 v10, 2, v10
	v_cmp_eq_u32_e64 s0, 3, v12
	v_and_b32_e32 v13, 7, v8
	v_cndmask_b32_e64 v4, 0, 1, vcc_lo
	v_cmp_ne_u32_e32 vcc_lo, 0, v6
	v_lshrrev_b32_e32 v8, 2, v8
	v_cmp_lt_i32_e64 s1, 5, v13
	v_cmp_eq_u32_e64 s2, 3, v13
	v_cndmask_b32_e64 v6, 0, 1, vcc_lo
	v_cmp_lt_i32_e32 vcc_lo, 5, v12
	v_lshl_or_b32 v4, v4, 9, 0x7c00
	v_lshl_or_b32 v6, v6, 9, 0x7c00
	s_or_b32 vcc_lo, s0, vcc_lo
	v_add_co_ci_u32_e32 v10, vcc_lo, 0, v10, vcc_lo
	s_or_b32 vcc_lo, s2, s1
	v_add_co_ci_u32_e32 v8, vcc_lo, 0, v8, vcc_lo
	v_cmp_gt_i32_e32 vcc_lo, 31, v9
	v_cndmask_b32_e32 v10, 0x7c00, v10, vcc_lo
	v_cmp_gt_i32_e32 vcc_lo, 31, v11
	v_cndmask_b32_e32 v8, 0x7c00, v8, vcc_lo
	v_cmp_eq_u32_e32 vcc_lo, 0x40f, v9
	v_cndmask_b32_e32 v4, v10, v4, vcc_lo
	v_cmp_eq_u32_e32 vcc_lo, 0x40f, v11
	v_and_or_b32 v4, 0x8000, v5, v4
	v_cndmask_b32_e32 v6, v8, v6, vcc_lo
	v_add_co_u32 v0, vcc_lo, v0, s6
	v_add_co_ci_u32_e32 v1, vcc_lo, s7, v1, vcc_lo
	v_and_or_b32 v5, 0x8000, v7, v6
	v_and_b32_e32 v4, 0xffff, v4
	v_lshl_or_b32 v4, v5, 16, v4
	global_store_dword v[0:1], v4, off
	global_load_dword v6, v[36:37], off offset:1168
	ds_read2_b32 v[4:5], v45 offset0:36 offset1:61
	s_waitcnt lgkmcnt(0)
	v_lshrrev_b32_e32 v7, 16, v4
	s_waitcnt vmcnt(0)
	v_mul_f16_sdwa v8, v7, v6 dst_sel:DWORD dst_unused:UNUSED_PAD src0_sel:DWORD src1_sel:WORD_1
	v_mul_f16_sdwa v9, v4, v6 dst_sel:DWORD dst_unused:UNUSED_PAD src0_sel:DWORD src1_sel:WORD_1
	v_fmac_f16_e32 v8, v4, v6
	v_fma_f16 v4, v6, v7, -v9
	v_cvt_f32_f16_e32 v6, v8
	v_cvt_f32_f16_e32 v4, v4
	v_cvt_f64_f32_e32 v[6:7], v6
	v_cvt_f64_f32_e32 v[8:9], v4
	v_mul_f64 v[6:7], v[6:7], s[4:5]
	v_mul_f64 v[8:9], v[8:9], s[4:5]
	v_and_or_b32 v4, 0x1ff, v7, v6
	v_and_or_b32 v8, 0x1ff, v9, v8
	v_lshrrev_b32_e32 v6, 8, v7
	v_bfe_u32 v10, v7, 20, 11
	v_lshrrev_b32_e32 v11, 8, v9
	v_cmp_ne_u32_e32 vcc_lo, 0, v4
	v_bfe_u32 v12, v9, 20, 11
	v_lshrrev_b32_e32 v7, 16, v7
	v_sub_nc_u32_e32 v13, 0x3f1, v10
	v_add_nc_u32_e32 v10, 0xfffffc10, v10
	v_cndmask_b32_e64 v4, 0, 1, vcc_lo
	v_cmp_ne_u32_e32 vcc_lo, 0, v8
	v_lshrrev_b32_e32 v9, 16, v9
	v_and_or_b32 v4, 0xffe, v6, v4
	v_cndmask_b32_e64 v8, 0, 1, vcc_lo
	v_sub_nc_u32_e32 v6, 0x3f1, v12
	v_add_nc_u32_e32 v12, 0xfffffc10, v12
	v_and_or_b32 v8, 0xffe, v11, v8
	v_med3_i32 v11, v13, 0, 13
	v_or_b32_e32 v13, 0x1000, v4
	v_med3_i32 v6, v6, 0, 13
	v_or_b32_e32 v14, 0x1000, v8
	v_lshrrev_b32_e32 v15, v11, v13
	v_lshrrev_b32_e32 v16, v6, v14
	v_lshlrev_b32_e32 v11, v11, v15
	v_lshlrev_b32_e32 v6, v6, v16
	v_cmp_ne_u32_e32 vcc_lo, v11, v13
	v_lshl_or_b32 v13, v10, 12, v4
	v_cndmask_b32_e64 v11, 0, 1, vcc_lo
	v_cmp_ne_u32_e32 vcc_lo, v6, v14
	v_lshl_or_b32 v14, v12, 12, v8
	v_or_b32_e32 v11, v15, v11
	v_cndmask_b32_e64 v6, 0, 1, vcc_lo
	v_cmp_gt_i32_e32 vcc_lo, 1, v10
	v_or_b32_e32 v6, v16, v6
	v_cndmask_b32_e32 v11, v13, v11, vcc_lo
	v_cmp_gt_i32_e32 vcc_lo, 1, v12
	v_and_b32_e32 v13, 7, v11
	v_cndmask_b32_e32 v6, v14, v6, vcc_lo
	v_cmp_ne_u32_e32 vcc_lo, 0, v4
	v_lshrrev_b32_e32 v11, 2, v11
	v_cmp_eq_u32_e64 s0, 3, v13
	v_and_b32_e32 v14, 7, v6
	v_cndmask_b32_e64 v4, 0, 1, vcc_lo
	v_cmp_ne_u32_e32 vcc_lo, 0, v8
	v_lshrrev_b32_e32 v6, 2, v6
	v_cmp_lt_i32_e64 s1, 5, v14
	v_cmp_eq_u32_e64 s2, 3, v14
	v_cndmask_b32_e64 v8, 0, 1, vcc_lo
	v_cmp_lt_i32_e32 vcc_lo, 5, v13
	v_lshl_or_b32 v4, v4, 9, 0x7c00
	v_lshl_or_b32 v8, v8, 9, 0x7c00
	s_or_b32 vcc_lo, s0, vcc_lo
	v_add_co_ci_u32_e32 v11, vcc_lo, 0, v11, vcc_lo
	s_or_b32 vcc_lo, s2, s1
	v_add_co_ci_u32_e32 v6, vcc_lo, 0, v6, vcc_lo
	v_cmp_gt_i32_e32 vcc_lo, 31, v10
	v_cndmask_b32_e32 v11, 0x7c00, v11, vcc_lo
	v_cmp_gt_i32_e32 vcc_lo, 31, v12
	v_cndmask_b32_e32 v6, 0x7c00, v6, vcc_lo
	v_cmp_eq_u32_e32 vcc_lo, 0x40f, v10
	v_cndmask_b32_e32 v4, v11, v4, vcc_lo
	v_cmp_eq_u32_e32 vcc_lo, 0x40f, v12
	v_and_or_b32 v4, 0x8000, v7, v4
	v_cndmask_b32_e32 v6, v6, v8, vcc_lo
	v_add_co_u32 v0, vcc_lo, v0, s6
	v_add_co_ci_u32_e32 v1, vcc_lo, s7, v1, vcc_lo
	v_and_or_b32 v6, 0x8000, v9, v6
	v_and_b32_e32 v4, 0xffff, v4
	v_lshl_or_b32 v4, v6, 16, v4
	v_lshrrev_b32_e32 v6, 16, v5
	global_store_dword v[0:1], v4, off
	global_load_dword v4, v[36:37], off offset:1268
	s_waitcnt vmcnt(0)
	v_mul_f16_sdwa v7, v6, v4 dst_sel:DWORD dst_unused:UNUSED_PAD src0_sel:DWORD src1_sel:WORD_1
	v_mul_f16_sdwa v8, v5, v4 dst_sel:DWORD dst_unused:UNUSED_PAD src0_sel:DWORD src1_sel:WORD_1
	v_fmac_f16_e32 v7, v5, v4
	v_fma_f16 v4, v4, v6, -v8
	v_cvt_f32_f16_e32 v5, v7
	v_cvt_f32_f16_e32 v6, v4
	v_cvt_f64_f32_e32 v[4:5], v5
	v_cvt_f64_f32_e32 v[6:7], v6
	v_mul_f64 v[4:5], v[4:5], s[4:5]
	v_mul_f64 v[6:7], v[6:7], s[4:5]
	v_and_or_b32 v4, 0x1ff, v5, v4
	v_and_or_b32 v6, 0x1ff, v7, v6
	v_lshrrev_b32_e32 v8, 8, v5
	v_bfe_u32 v9, v5, 20, 11
	v_lshrrev_b32_e32 v10, 8, v7
	v_cmp_ne_u32_e32 vcc_lo, 0, v4
	v_bfe_u32 v11, v7, 20, 11
	v_lshrrev_b32_e32 v5, 16, v5
	v_sub_nc_u32_e32 v12, 0x3f1, v9
	v_add_nc_u32_e32 v9, 0xfffffc10, v9
	v_cndmask_b32_e64 v4, 0, 1, vcc_lo
	v_cmp_ne_u32_e32 vcc_lo, 0, v6
	v_lshrrev_b32_e32 v7, 16, v7
	v_and_or_b32 v4, 0xffe, v8, v4
	v_cndmask_b32_e64 v6, 0, 1, vcc_lo
	v_sub_nc_u32_e32 v8, 0x3f1, v11
	v_add_nc_u32_e32 v11, 0xfffffc10, v11
	v_and_or_b32 v6, 0xffe, v10, v6
	v_med3_i32 v10, v12, 0, 13
	v_or_b32_e32 v12, 0x1000, v4
	v_med3_i32 v8, v8, 0, 13
	v_or_b32_e32 v13, 0x1000, v6
	v_lshrrev_b32_e32 v14, v10, v12
	v_lshrrev_b32_e32 v15, v8, v13
	v_lshlrev_b32_e32 v10, v10, v14
	v_lshlrev_b32_e32 v8, v8, v15
	v_cmp_ne_u32_e32 vcc_lo, v10, v12
	v_lshl_or_b32 v12, v9, 12, v4
	v_cndmask_b32_e64 v10, 0, 1, vcc_lo
	v_cmp_ne_u32_e32 vcc_lo, v8, v13
	v_lshl_or_b32 v13, v11, 12, v6
	v_or_b32_e32 v10, v14, v10
	v_cndmask_b32_e64 v8, 0, 1, vcc_lo
	v_cmp_gt_i32_e32 vcc_lo, 1, v9
	v_or_b32_e32 v8, v15, v8
	v_cndmask_b32_e32 v10, v12, v10, vcc_lo
	v_cmp_gt_i32_e32 vcc_lo, 1, v11
	v_and_b32_e32 v12, 7, v10
	v_cndmask_b32_e32 v8, v13, v8, vcc_lo
	v_cmp_ne_u32_e32 vcc_lo, 0, v4
	v_lshrrev_b32_e32 v10, 2, v10
	v_cmp_eq_u32_e64 s0, 3, v12
	v_and_b32_e32 v13, 7, v8
	v_cndmask_b32_e64 v4, 0, 1, vcc_lo
	v_cmp_ne_u32_e32 vcc_lo, 0, v6
	v_lshrrev_b32_e32 v8, 2, v8
	v_cmp_lt_i32_e64 s1, 5, v13
	v_cmp_eq_u32_e64 s2, 3, v13
	v_cndmask_b32_e64 v6, 0, 1, vcc_lo
	v_cmp_lt_i32_e32 vcc_lo, 5, v12
	v_lshl_or_b32 v4, v4, 9, 0x7c00
	v_lshl_or_b32 v6, v6, 9, 0x7c00
	s_or_b32 vcc_lo, s0, vcc_lo
	v_add_co_ci_u32_e32 v10, vcc_lo, 0, v10, vcc_lo
	s_or_b32 vcc_lo, s2, s1
	v_add_co_ci_u32_e32 v8, vcc_lo, 0, v8, vcc_lo
	v_cmp_gt_i32_e32 vcc_lo, 31, v9
	v_cndmask_b32_e32 v10, 0x7c00, v10, vcc_lo
	v_cmp_gt_i32_e32 vcc_lo, 31, v11
	v_cndmask_b32_e32 v8, 0x7c00, v8, vcc_lo
	v_cmp_eq_u32_e32 vcc_lo, 0x40f, v9
	v_cndmask_b32_e32 v4, v10, v4, vcc_lo
	v_cmp_eq_u32_e32 vcc_lo, 0x40f, v11
	v_and_or_b32 v4, 0x8000, v5, v4
	v_cndmask_b32_e32 v6, v8, v6, vcc_lo
	v_add_co_u32 v0, vcc_lo, v0, s6
	v_add_co_ci_u32_e32 v1, vcc_lo, s7, v1, vcc_lo
	v_and_or_b32 v5, 0x8000, v7, v6
	v_and_b32_e32 v4, 0xffff, v4
	v_lshl_or_b32 v4, v5, 16, v4
	global_store_dword v[0:1], v4, off
	global_load_dword v6, v[36:37], off offset:1368
	ds_read2_b32 v[4:5], v45 offset0:86 offset1:111
	s_waitcnt lgkmcnt(0)
	v_lshrrev_b32_e32 v7, 16, v4
	s_waitcnt vmcnt(0)
	v_mul_f16_sdwa v8, v7, v6 dst_sel:DWORD dst_unused:UNUSED_PAD src0_sel:DWORD src1_sel:WORD_1
	v_mul_f16_sdwa v9, v4, v6 dst_sel:DWORD dst_unused:UNUSED_PAD src0_sel:DWORD src1_sel:WORD_1
	v_fmac_f16_e32 v8, v4, v6
	v_fma_f16 v4, v6, v7, -v9
	v_cvt_f32_f16_e32 v6, v8
	v_cvt_f32_f16_e32 v4, v4
	v_cvt_f64_f32_e32 v[6:7], v6
	v_cvt_f64_f32_e32 v[8:9], v4
	v_mul_f64 v[6:7], v[6:7], s[4:5]
	v_mul_f64 v[8:9], v[8:9], s[4:5]
	v_and_or_b32 v4, 0x1ff, v7, v6
	v_and_or_b32 v8, 0x1ff, v9, v8
	v_lshrrev_b32_e32 v6, 8, v7
	v_bfe_u32 v10, v7, 20, 11
	v_lshrrev_b32_e32 v11, 8, v9
	v_cmp_ne_u32_e32 vcc_lo, 0, v4
	v_bfe_u32 v12, v9, 20, 11
	v_lshrrev_b32_e32 v7, 16, v7
	v_sub_nc_u32_e32 v13, 0x3f1, v10
	v_add_nc_u32_e32 v10, 0xfffffc10, v10
	v_cndmask_b32_e64 v4, 0, 1, vcc_lo
	v_cmp_ne_u32_e32 vcc_lo, 0, v8
	v_lshrrev_b32_e32 v9, 16, v9
	v_and_or_b32 v4, 0xffe, v6, v4
	v_cndmask_b32_e64 v8, 0, 1, vcc_lo
	v_sub_nc_u32_e32 v6, 0x3f1, v12
	v_add_nc_u32_e32 v12, 0xfffffc10, v12
	v_and_or_b32 v8, 0xffe, v11, v8
	v_med3_i32 v11, v13, 0, 13
	v_or_b32_e32 v13, 0x1000, v4
	v_med3_i32 v6, v6, 0, 13
	v_or_b32_e32 v14, 0x1000, v8
	v_lshrrev_b32_e32 v15, v11, v13
	v_lshrrev_b32_e32 v16, v6, v14
	v_lshlrev_b32_e32 v11, v11, v15
	v_lshlrev_b32_e32 v6, v6, v16
	v_cmp_ne_u32_e32 vcc_lo, v11, v13
	v_lshl_or_b32 v13, v10, 12, v4
	v_cndmask_b32_e64 v11, 0, 1, vcc_lo
	v_cmp_ne_u32_e32 vcc_lo, v6, v14
	v_lshl_or_b32 v14, v12, 12, v8
	v_or_b32_e32 v11, v15, v11
	v_cndmask_b32_e64 v6, 0, 1, vcc_lo
	v_cmp_gt_i32_e32 vcc_lo, 1, v10
	v_or_b32_e32 v6, v16, v6
	v_cndmask_b32_e32 v11, v13, v11, vcc_lo
	v_cmp_gt_i32_e32 vcc_lo, 1, v12
	v_and_b32_e32 v13, 7, v11
	v_cndmask_b32_e32 v6, v14, v6, vcc_lo
	v_cmp_ne_u32_e32 vcc_lo, 0, v4
	v_lshrrev_b32_e32 v11, 2, v11
	v_cmp_eq_u32_e64 s0, 3, v13
	v_and_b32_e32 v14, 7, v6
	v_cndmask_b32_e64 v4, 0, 1, vcc_lo
	v_cmp_ne_u32_e32 vcc_lo, 0, v8
	v_lshrrev_b32_e32 v6, 2, v6
	v_cmp_lt_i32_e64 s1, 5, v14
	v_cmp_eq_u32_e64 s2, 3, v14
	v_cndmask_b32_e64 v8, 0, 1, vcc_lo
	v_cmp_lt_i32_e32 vcc_lo, 5, v13
	v_lshl_or_b32 v4, v4, 9, 0x7c00
	v_lshl_or_b32 v8, v8, 9, 0x7c00
	s_or_b32 vcc_lo, s0, vcc_lo
	v_add_co_ci_u32_e32 v11, vcc_lo, 0, v11, vcc_lo
	s_or_b32 vcc_lo, s2, s1
	v_add_co_ci_u32_e32 v6, vcc_lo, 0, v6, vcc_lo
	v_cmp_gt_i32_e32 vcc_lo, 31, v10
	v_cndmask_b32_e32 v11, 0x7c00, v11, vcc_lo
	v_cmp_gt_i32_e32 vcc_lo, 31, v12
	v_cndmask_b32_e32 v6, 0x7c00, v6, vcc_lo
	v_cmp_eq_u32_e32 vcc_lo, 0x40f, v10
	v_cndmask_b32_e32 v4, v11, v4, vcc_lo
	v_cmp_eq_u32_e32 vcc_lo, 0x40f, v12
	v_and_or_b32 v4, 0x8000, v7, v4
	v_cndmask_b32_e32 v6, v6, v8, vcc_lo
	v_add_co_u32 v0, vcc_lo, v0, s6
	v_add_co_ci_u32_e32 v1, vcc_lo, s7, v1, vcc_lo
	v_and_or_b32 v6, 0x8000, v9, v6
	v_and_b32_e32 v4, 0xffff, v4
	v_lshl_or_b32 v4, v6, 16, v4
	v_lshrrev_b32_e32 v6, 16, v5
	global_store_dword v[0:1], v4, off
	global_load_dword v4, v[36:37], off offset:1468
	s_waitcnt vmcnt(0)
	v_mul_f16_sdwa v7, v6, v4 dst_sel:DWORD dst_unused:UNUSED_PAD src0_sel:DWORD src1_sel:WORD_1
	v_mul_f16_sdwa v8, v5, v4 dst_sel:DWORD dst_unused:UNUSED_PAD src0_sel:DWORD src1_sel:WORD_1
	v_fmac_f16_e32 v7, v5, v4
	v_fma_f16 v4, v4, v6, -v8
	v_cvt_f32_f16_e32 v5, v7
	v_cvt_f32_f16_e32 v6, v4
	v_cvt_f64_f32_e32 v[4:5], v5
	v_cvt_f64_f32_e32 v[6:7], v6
	v_mul_f64 v[4:5], v[4:5], s[4:5]
	v_mul_f64 v[6:7], v[6:7], s[4:5]
	v_and_or_b32 v4, 0x1ff, v5, v4
	v_and_or_b32 v6, 0x1ff, v7, v6
	v_lshrrev_b32_e32 v8, 8, v5
	v_bfe_u32 v9, v5, 20, 11
	v_lshrrev_b32_e32 v10, 8, v7
	v_cmp_ne_u32_e32 vcc_lo, 0, v4
	v_bfe_u32 v11, v7, 20, 11
	v_lshrrev_b32_e32 v5, 16, v5
	v_sub_nc_u32_e32 v12, 0x3f1, v9
	v_add_nc_u32_e32 v9, 0xfffffc10, v9
	v_cndmask_b32_e64 v4, 0, 1, vcc_lo
	v_cmp_ne_u32_e32 vcc_lo, 0, v6
	v_lshrrev_b32_e32 v7, 16, v7
	v_and_or_b32 v4, 0xffe, v8, v4
	v_cndmask_b32_e64 v6, 0, 1, vcc_lo
	v_sub_nc_u32_e32 v8, 0x3f1, v11
	v_add_nc_u32_e32 v11, 0xfffffc10, v11
	v_and_or_b32 v6, 0xffe, v10, v6
	v_med3_i32 v10, v12, 0, 13
	v_or_b32_e32 v12, 0x1000, v4
	v_med3_i32 v8, v8, 0, 13
	v_or_b32_e32 v13, 0x1000, v6
	v_lshrrev_b32_e32 v14, v10, v12
	v_lshrrev_b32_e32 v15, v8, v13
	v_lshlrev_b32_e32 v10, v10, v14
	v_lshlrev_b32_e32 v8, v8, v15
	v_cmp_ne_u32_e32 vcc_lo, v10, v12
	v_lshl_or_b32 v12, v9, 12, v4
	v_cndmask_b32_e64 v10, 0, 1, vcc_lo
	v_cmp_ne_u32_e32 vcc_lo, v8, v13
	v_lshl_or_b32 v13, v11, 12, v6
	v_or_b32_e32 v10, v14, v10
	v_cndmask_b32_e64 v8, 0, 1, vcc_lo
	v_cmp_gt_i32_e32 vcc_lo, 1, v9
	v_or_b32_e32 v8, v15, v8
	v_cndmask_b32_e32 v10, v12, v10, vcc_lo
	v_cmp_gt_i32_e32 vcc_lo, 1, v11
	v_and_b32_e32 v12, 7, v10
	v_cndmask_b32_e32 v8, v13, v8, vcc_lo
	v_cmp_ne_u32_e32 vcc_lo, 0, v4
	v_lshrrev_b32_e32 v10, 2, v10
	v_cmp_eq_u32_e64 s0, 3, v12
	v_and_b32_e32 v13, 7, v8
	v_cndmask_b32_e64 v4, 0, 1, vcc_lo
	v_cmp_ne_u32_e32 vcc_lo, 0, v6
	v_lshrrev_b32_e32 v8, 2, v8
	v_cmp_lt_i32_e64 s1, 5, v13
	v_cmp_eq_u32_e64 s2, 3, v13
	v_cndmask_b32_e64 v6, 0, 1, vcc_lo
	v_cmp_lt_i32_e32 vcc_lo, 5, v12
	v_lshl_or_b32 v4, v4, 9, 0x7c00
	v_lshl_or_b32 v6, v6, 9, 0x7c00
	s_or_b32 vcc_lo, s0, vcc_lo
	v_add_co_ci_u32_e32 v10, vcc_lo, 0, v10, vcc_lo
	s_or_b32 vcc_lo, s2, s1
	v_add_co_ci_u32_e32 v8, vcc_lo, 0, v8, vcc_lo
	v_cmp_gt_i32_e32 vcc_lo, 31, v9
	v_cndmask_b32_e32 v10, 0x7c00, v10, vcc_lo
	v_cmp_gt_i32_e32 vcc_lo, 31, v11
	v_cndmask_b32_e32 v8, 0x7c00, v8, vcc_lo
	v_cmp_eq_u32_e32 vcc_lo, 0x40f, v9
	v_cndmask_b32_e32 v4, v10, v4, vcc_lo
	v_cmp_eq_u32_e32 vcc_lo, 0x40f, v11
	v_and_or_b32 v4, 0x8000, v5, v4
	v_cndmask_b32_e32 v6, v8, v6, vcc_lo
	v_add_co_u32 v0, vcc_lo, v0, s6
	v_add_co_ci_u32_e32 v1, vcc_lo, s7, v1, vcc_lo
	v_and_or_b32 v5, 0x8000, v7, v6
	v_and_b32_e32 v4, 0xffff, v4
	v_lshl_or_b32 v4, v5, 16, v4
	global_store_dword v[0:1], v4, off
	global_load_dword v6, v[36:37], off offset:1568
	ds_read2_b32 v[4:5], v45 offset0:136 offset1:161
	v_mad_u64_u32 v[0:1], null, 0xc8, s8, v[0:1]
	v_add_nc_u32_e32 v1, s3, v1
	s_waitcnt lgkmcnt(0)
	v_lshrrev_b32_e32 v7, 16, v4
	s_waitcnt vmcnt(0)
	v_mul_f16_sdwa v8, v7, v6 dst_sel:DWORD dst_unused:UNUSED_PAD src0_sel:DWORD src1_sel:WORD_1
	v_mul_f16_sdwa v9, v4, v6 dst_sel:DWORD dst_unused:UNUSED_PAD src0_sel:DWORD src1_sel:WORD_1
	v_fmac_f16_e32 v8, v4, v6
	v_fma_f16 v4, v6, v7, -v9
	v_cvt_f32_f16_e32 v6, v8
	v_cvt_f32_f16_e32 v4, v4
	v_cvt_f64_f32_e32 v[6:7], v6
	v_cvt_f64_f32_e32 v[8:9], v4
	v_mul_f64 v[6:7], v[6:7], s[4:5]
	v_mul_f64 v[8:9], v[8:9], s[4:5]
	v_and_or_b32 v4, 0x1ff, v7, v6
	v_and_or_b32 v8, 0x1ff, v9, v8
	v_lshrrev_b32_e32 v6, 8, v7
	v_bfe_u32 v12, v7, 20, 11
	v_lshrrev_b32_e32 v10, 8, v9
	v_cmp_ne_u32_e32 vcc_lo, 0, v4
	v_bfe_u32 v13, v9, 20, 11
	v_lshrrev_b32_e32 v7, 16, v7
	v_sub_nc_u32_e32 v11, 0x3f1, v12
	v_lshrrev_b32_e32 v9, 16, v9
	v_cndmask_b32_e64 v4, 0, 1, vcc_lo
	v_cmp_ne_u32_e32 vcc_lo, 0, v8
	v_sub_nc_u32_e32 v14, 0x3f1, v13
	v_add_nc_u32_e32 v13, 0xfffffc10, v13
	v_and_or_b32 v6, 0xffe, v6, v4
	v_cndmask_b32_e64 v8, 0, 1, vcc_lo
	v_med3_i32 v4, v11, 0, 13
	v_med3_i32 v14, v14, 0, 13
	v_or_b32_e32 v15, 0x1000, v6
	v_and_or_b32 v8, 0xffe, v10, v8
	v_mad_u64_u32 v[10:11], null, s8, v20, 0
	v_lshrrev_b32_e32 v17, v4, v15
	v_or_b32_e32 v16, 0x1000, v8
	v_lshlrev_b32_e32 v19, v4, v17
	v_lshrrev_b32_e32 v18, v14, v16
	v_mov_b32_e32 v4, v11
	v_cmp_ne_u32_e32 vcc_lo, v19, v15
	v_lshlrev_b32_e32 v11, v14, v18
	v_add_nc_u32_e32 v14, 0xfffffc10, v12
	v_cndmask_b32_e64 v15, 0, 1, vcc_lo
	v_cmp_ne_u32_e32 vcc_lo, v11, v16
	v_mad_u64_u32 v[11:12], null, s9, v20, v[4:5]
	v_lshl_or_b32 v4, v14, 12, v6
	v_or_b32_e32 v12, v17, v15
	v_cndmask_b32_e64 v16, 0, 1, vcc_lo
	v_cmp_gt_i32_e32 vcc_lo, 1, v14
	v_lshl_or_b32 v15, v13, 12, v8
	v_or_b32_e32 v16, v18, v16
	v_cndmask_b32_e32 v4, v4, v12, vcc_lo
	v_cmp_gt_i32_e32 vcc_lo, 1, v13
	v_cndmask_b32_e32 v12, v15, v16, vcc_lo
	v_cmp_ne_u32_e32 vcc_lo, 0, v6
	v_and_b32_e32 v15, 7, v4
	v_lshrrev_b32_e32 v4, 2, v4
	v_and_b32_e32 v16, 7, v12
	v_cndmask_b32_e64 v6, 0, 1, vcc_lo
	v_cmp_ne_u32_e32 vcc_lo, 0, v8
	v_cmp_eq_u32_e64 s0, 3, v15
	v_lshrrev_b32_e32 v12, 2, v12
	v_cmp_lt_i32_e64 s1, 5, v16
	v_cmp_eq_u32_e64 s2, 3, v16
	v_cndmask_b32_e64 v8, 0, 1, vcc_lo
	v_cmp_lt_i32_e32 vcc_lo, 5, v15
	v_lshl_or_b32 v6, v6, 9, 0x7c00
	v_lshl_or_b32 v8, v8, 9, 0x7c00
	s_or_b32 vcc_lo, s0, vcc_lo
	v_add_co_ci_u32_e32 v4, vcc_lo, 0, v4, vcc_lo
	s_or_b32 vcc_lo, s2, s1
	v_add_co_ci_u32_e32 v12, vcc_lo, 0, v12, vcc_lo
	v_cmp_gt_i32_e32 vcc_lo, 31, v14
	v_cndmask_b32_e32 v4, 0x7c00, v4, vcc_lo
	v_cmp_gt_i32_e32 vcc_lo, 31, v13
	v_cndmask_b32_e32 v12, 0x7c00, v12, vcc_lo
	v_cmp_eq_u32_e32 vcc_lo, 0x40f, v14
	v_cndmask_b32_e32 v4, v4, v6, vcc_lo
	v_cmp_eq_u32_e32 vcc_lo, 0x40f, v13
	v_and_or_b32 v4, 0x8000, v7, v4
	v_cndmask_b32_e32 v8, v12, v8, vcc_lo
	v_lshlrev_b64 v[6:7], 2, v[10:11]
	v_and_b32_e32 v4, 0xffff, v4
	v_and_or_b32 v8, 0x8000, v9, v8
	v_add_co_u32 v2, vcc_lo, v2, v6
	v_add_co_ci_u32_e32 v3, vcc_lo, v3, v7, vcc_lo
	v_lshl_or_b32 v4, v8, 16, v4
	global_store_dword v[2:3], v4, off
	global_load_dword v2, v[36:37], off offset:1668
	v_lshrrev_b32_e32 v3, 16, v5
	s_waitcnt vmcnt(0)
	v_mul_f16_sdwa v4, v3, v2 dst_sel:DWORD dst_unused:UNUSED_PAD src0_sel:DWORD src1_sel:WORD_1
	v_mul_f16_sdwa v6, v5, v2 dst_sel:DWORD dst_unused:UNUSED_PAD src0_sel:DWORD src1_sel:WORD_1
	v_fmac_f16_e32 v4, v5, v2
	v_fma_f16 v2, v2, v3, -v6
	v_cvt_f32_f16_e32 v3, v4
	v_cvt_f32_f16_e32 v4, v2
	v_cvt_f64_f32_e32 v[2:3], v3
	v_cvt_f64_f32_e32 v[4:5], v4
	v_mul_f64 v[2:3], v[2:3], s[4:5]
	v_mul_f64 v[4:5], v[4:5], s[4:5]
	v_and_or_b32 v2, 0x1ff, v3, v2
	v_and_or_b32 v4, 0x1ff, v5, v4
	v_lshrrev_b32_e32 v6, 8, v3
	v_bfe_u32 v7, v3, 20, 11
	v_lshrrev_b32_e32 v8, 8, v5
	v_cmp_ne_u32_e32 vcc_lo, 0, v2
	v_bfe_u32 v9, v5, 20, 11
	v_lshrrev_b32_e32 v3, 16, v3
	v_sub_nc_u32_e32 v10, 0x3f1, v7
	v_add_nc_u32_e32 v7, 0xfffffc10, v7
	v_cndmask_b32_e64 v2, 0, 1, vcc_lo
	v_cmp_ne_u32_e32 vcc_lo, 0, v4
	v_lshrrev_b32_e32 v5, 16, v5
	v_and_or_b32 v2, 0xffe, v6, v2
	v_cndmask_b32_e64 v4, 0, 1, vcc_lo
	v_sub_nc_u32_e32 v6, 0x3f1, v9
	v_add_nc_u32_e32 v9, 0xfffffc10, v9
	v_and_or_b32 v4, 0xffe, v8, v4
	v_med3_i32 v8, v10, 0, 13
	v_or_b32_e32 v10, 0x1000, v2
	v_med3_i32 v6, v6, 0, 13
	v_or_b32_e32 v11, 0x1000, v4
	v_lshrrev_b32_e32 v12, v8, v10
	v_lshrrev_b32_e32 v13, v6, v11
	v_lshlrev_b32_e32 v8, v8, v12
	v_lshlrev_b32_e32 v6, v6, v13
	v_cmp_ne_u32_e32 vcc_lo, v8, v10
	v_lshl_or_b32 v10, v7, 12, v2
	v_cndmask_b32_e64 v8, 0, 1, vcc_lo
	v_cmp_ne_u32_e32 vcc_lo, v6, v11
	v_lshl_or_b32 v11, v9, 12, v4
	v_or_b32_e32 v8, v12, v8
	v_cndmask_b32_e64 v6, 0, 1, vcc_lo
	v_cmp_gt_i32_e32 vcc_lo, 1, v7
	v_or_b32_e32 v6, v13, v6
	v_cndmask_b32_e32 v8, v10, v8, vcc_lo
	v_cmp_gt_i32_e32 vcc_lo, 1, v9
	v_and_b32_e32 v10, 7, v8
	v_cndmask_b32_e32 v6, v11, v6, vcc_lo
	v_cmp_ne_u32_e32 vcc_lo, 0, v2
	v_lshrrev_b32_e32 v8, 2, v8
	v_cmp_eq_u32_e64 s0, 3, v10
	v_and_b32_e32 v11, 7, v6
	v_cndmask_b32_e64 v2, 0, 1, vcc_lo
	v_cmp_ne_u32_e32 vcc_lo, 0, v4
	v_lshrrev_b32_e32 v6, 2, v6
	v_cmp_lt_i32_e64 s1, 5, v11
	v_cmp_eq_u32_e64 s2, 3, v11
	v_cndmask_b32_e64 v4, 0, 1, vcc_lo
	v_cmp_lt_i32_e32 vcc_lo, 5, v10
	v_lshl_or_b32 v2, v2, 9, 0x7c00
	v_lshl_or_b32 v4, v4, 9, 0x7c00
	s_or_b32 vcc_lo, s0, vcc_lo
	v_add_co_ci_u32_e32 v8, vcc_lo, 0, v8, vcc_lo
	s_or_b32 vcc_lo, s2, s1
	v_add_co_ci_u32_e32 v6, vcc_lo, 0, v6, vcc_lo
	v_cmp_gt_i32_e32 vcc_lo, 31, v7
	v_cndmask_b32_e32 v8, 0x7c00, v8, vcc_lo
	v_cmp_gt_i32_e32 vcc_lo, 31, v9
	v_cndmask_b32_e32 v6, 0x7c00, v6, vcc_lo
	v_cmp_eq_u32_e32 vcc_lo, 0x40f, v7
	v_cndmask_b32_e32 v2, v8, v2, vcc_lo
	v_cmp_eq_u32_e32 vcc_lo, 0x40f, v9
	v_and_or_b32 v2, 0x8000, v3, v2
	v_cndmask_b32_e32 v4, v6, v4, vcc_lo
	v_and_b32_e32 v2, 0xffff, v2
	v_and_or_b32 v3, 0x8000, v5, v4
	v_lshl_or_b32 v2, v3, 16, v2
	global_store_dword v[0:1], v2, off
.LBB0_15:
	s_endpgm
	.section	.rodata,"a",@progbits
	.p2align	6, 0x0
	.amdhsa_kernel bluestein_single_fwd_len425_dim1_half_op_CI_CI
		.amdhsa_group_segment_fixed_size 5100
		.amdhsa_private_segment_fixed_size 36
		.amdhsa_kernarg_size 104
		.amdhsa_user_sgpr_count 6
		.amdhsa_user_sgpr_private_segment_buffer 1
		.amdhsa_user_sgpr_dispatch_ptr 0
		.amdhsa_user_sgpr_queue_ptr 0
		.amdhsa_user_sgpr_kernarg_segment_ptr 1
		.amdhsa_user_sgpr_dispatch_id 0
		.amdhsa_user_sgpr_flat_scratch_init 0
		.amdhsa_user_sgpr_private_segment_size 0
		.amdhsa_wavefront_size32 1
		.amdhsa_uses_dynamic_stack 0
		.amdhsa_system_sgpr_private_segment_wavefront_offset 1
		.amdhsa_system_sgpr_workgroup_id_x 1
		.amdhsa_system_sgpr_workgroup_id_y 0
		.amdhsa_system_sgpr_workgroup_id_z 0
		.amdhsa_system_sgpr_workgroup_info 0
		.amdhsa_system_vgpr_workitem_id 0
		.amdhsa_next_free_vgpr 256
		.amdhsa_next_free_sgpr 24
		.amdhsa_reserve_vcc 1
		.amdhsa_reserve_flat_scratch 0
		.amdhsa_float_round_mode_32 0
		.amdhsa_float_round_mode_16_64 0
		.amdhsa_float_denorm_mode_32 3
		.amdhsa_float_denorm_mode_16_64 3
		.amdhsa_dx10_clamp 1
		.amdhsa_ieee_mode 1
		.amdhsa_fp16_overflow 0
		.amdhsa_workgroup_processor_mode 1
		.amdhsa_memory_ordered 1
		.amdhsa_forward_progress 0
		.amdhsa_shared_vgpr_count 0
		.amdhsa_exception_fp_ieee_invalid_op 0
		.amdhsa_exception_fp_denorm_src 0
		.amdhsa_exception_fp_ieee_div_zero 0
		.amdhsa_exception_fp_ieee_overflow 0
		.amdhsa_exception_fp_ieee_underflow 0
		.amdhsa_exception_fp_ieee_inexact 0
		.amdhsa_exception_int_div_zero 0
	.end_amdhsa_kernel
	.text
.Lfunc_end0:
	.size	bluestein_single_fwd_len425_dim1_half_op_CI_CI, .Lfunc_end0-bluestein_single_fwd_len425_dim1_half_op_CI_CI
                                        ; -- End function
	.section	.AMDGPU.csdata,"",@progbits
; Kernel info:
; codeLenInByte = 58772
; NumSgprs: 26
; NumVgprs: 256
; ScratchSize: 36
; MemoryBound: 0
; FloatMode: 240
; IeeeMode: 1
; LDSByteSize: 5100 bytes/workgroup (compile time only)
; SGPRBlocks: 3
; VGPRBlocks: 31
; NumSGPRsForWavesPerEU: 26
; NumVGPRsForWavesPerEU: 256
; Occupancy: 4
; WaveLimiterHint : 1
; COMPUTE_PGM_RSRC2:SCRATCH_EN: 1
; COMPUTE_PGM_RSRC2:USER_SGPR: 6
; COMPUTE_PGM_RSRC2:TRAP_HANDLER: 0
; COMPUTE_PGM_RSRC2:TGID_X_EN: 1
; COMPUTE_PGM_RSRC2:TGID_Y_EN: 0
; COMPUTE_PGM_RSRC2:TGID_Z_EN: 0
; COMPUTE_PGM_RSRC2:TIDIG_COMP_CNT: 0
	.text
	.p2alignl 6, 3214868480
	.fill 48, 4, 3214868480
	.type	__hip_cuid_c390404bfcae9f33,@object ; @__hip_cuid_c390404bfcae9f33
	.section	.bss,"aw",@nobits
	.globl	__hip_cuid_c390404bfcae9f33
__hip_cuid_c390404bfcae9f33:
	.byte	0                               ; 0x0
	.size	__hip_cuid_c390404bfcae9f33, 1

	.ident	"AMD clang version 19.0.0git (https://github.com/RadeonOpenCompute/llvm-project roc-6.4.0 25133 c7fe45cf4b819c5991fe208aaa96edf142730f1d)"
	.section	".note.GNU-stack","",@progbits
	.addrsig
	.addrsig_sym __hip_cuid_c390404bfcae9f33
	.amdgpu_metadata
---
amdhsa.kernels:
  - .args:
      - .actual_access:  read_only
        .address_space:  global
        .offset:         0
        .size:           8
        .value_kind:     global_buffer
      - .actual_access:  read_only
        .address_space:  global
        .offset:         8
        .size:           8
        .value_kind:     global_buffer
      - .actual_access:  read_only
        .address_space:  global
        .offset:         16
        .size:           8
        .value_kind:     global_buffer
      - .actual_access:  read_only
        .address_space:  global
        .offset:         24
        .size:           8
        .value_kind:     global_buffer
      - .actual_access:  read_only
        .address_space:  global
        .offset:         32
        .size:           8
        .value_kind:     global_buffer
      - .offset:         40
        .size:           8
        .value_kind:     by_value
      - .address_space:  global
        .offset:         48
        .size:           8
        .value_kind:     global_buffer
      - .address_space:  global
        .offset:         56
        .size:           8
        .value_kind:     global_buffer
      - .address_space:  global
        .offset:         64
        .size:           8
        .value_kind:     global_buffer
      - .address_space:  global
        .offset:         72
        .size:           8
        .value_kind:     global_buffer
      - .offset:         80
        .size:           4
        .value_kind:     by_value
      - .address_space:  global
        .offset:         88
        .size:           8
        .value_kind:     global_buffer
      - .address_space:  global
        .offset:         96
        .size:           8
        .value_kind:     global_buffer
    .group_segment_fixed_size: 5100
    .kernarg_segment_align: 8
    .kernarg_segment_size: 104
    .language:       OpenCL C
    .language_version:
      - 2
      - 0
    .max_flat_workgroup_size: 51
    .name:           bluestein_single_fwd_len425_dim1_half_op_CI_CI
    .private_segment_fixed_size: 36
    .sgpr_count:     26
    .sgpr_spill_count: 0
    .symbol:         bluestein_single_fwd_len425_dim1_half_op_CI_CI.kd
    .uniform_work_group_size: 1
    .uses_dynamic_stack: false
    .vgpr_count:     256
    .vgpr_spill_count: 8
    .wavefront_size: 32
    .workgroup_processor_mode: 1
amdhsa.target:   amdgcn-amd-amdhsa--gfx1030
amdhsa.version:
  - 1
  - 2
...

	.end_amdgpu_metadata
